;; amdgpu-corpus repo=ROCm/rocFFT kind=compiled arch=gfx1030 opt=O3
	.text
	.amdgcn_target "amdgcn-amd-amdhsa--gfx1030"
	.amdhsa_code_object_version 6
	.protected	bluestein_single_fwd_len165_dim1_half_op_CI_CI ; -- Begin function bluestein_single_fwd_len165_dim1_half_op_CI_CI
	.globl	bluestein_single_fwd_len165_dim1_half_op_CI_CI
	.p2align	8
	.type	bluestein_single_fwd_len165_dim1_half_op_CI_CI,@function
bluestein_single_fwd_len165_dim1_half_op_CI_CI: ; @bluestein_single_fwd_len165_dim1_half_op_CI_CI
; %bb.0:
	s_load_dwordx4 s[8:11], s[4:5], 0x28
	v_mul_u32_u24_e32 v1, 0x1746, v0
	s_mov_b32 s0, exec_lo
	v_lshrrev_b32_e32 v1, 16, v1
	v_mad_u64_u32 v[10:11], null, s6, 5, v[1:2]
	v_mov_b32_e32 v11, 0
	s_waitcnt lgkmcnt(0)
	v_cmpx_gt_u64_e64 s[8:9], v[10:11]
	s_cbranch_execz .LBB0_15
; %bb.1:
	s_load_dwordx4 s[0:3], s[4:5], 0x18
	v_mul_lo_u16 v1, v1, 11
	v_mul_hi_u32 v8, 0xcccccccd, v10
	v_sub_nc_u16 v7, v0, v1
	v_lshrrev_b32_e32 v8, 2, v8
	v_and_b32_e32 v53, 0xffff, v7
	v_lshl_add_u32 v8, v8, 2, v8
	v_lshlrev_b32_e32 v32, 2, v53
	v_or_b32_e32 v44, 56, v53
	v_or_b32_e32 v43, 0x74, v53
	v_sub_nc_u32_e32 v8, v10, v8
	s_waitcnt lgkmcnt(0)
	s_load_dwordx4 s[12:15], s[0:1], 0x0
	v_mul_u32_u24_e32 v8, 0xa5, v8
	v_lshlrev_b32_e32 v57, 2, v8
	v_add_nc_u32_e32 v42, v32, v57
	s_waitcnt lgkmcnt(0)
	v_mad_u64_u32 v[0:1], null, s14, v10, 0
	v_mad_u64_u32 v[2:3], null, s12, v53, 0
	s_mul_i32 s1, s13, 15
	s_mul_hi_u32 s6, s12, 15
	s_mul_i32 s0, s12, 15
	s_add_i32 s1, s6, s1
	s_load_dwordx2 s[6:7], s[4:5], 0x38
	s_lshl_b64 s[16:17], s[0:1], 2
	v_mad_u64_u32 v[4:5], null, s15, v10, v[1:2]
	s_load_dwordx2 s[14:15], s[4:5], 0x0
	v_mad_u64_u32 v[5:6], null, s13, v53, v[3:4]
	v_mov_b32_e32 v1, v4
	v_lshlrev_b64 v[0:1], 2, v[0:1]
	v_mov_b32_e32 v3, v5
	v_lshlrev_b64 v[4:5], 2, v[2:3]
	v_add_co_u32 v2, vcc_lo, s10, v0
	v_add_co_ci_u32_e32 v3, vcc_lo, s11, v1, vcc_lo
	s_waitcnt lgkmcnt(0)
	v_add_co_u32 v8, s0, s14, v32
	v_add_co_u32 v0, vcc_lo, v2, v4
	v_add_co_ci_u32_e32 v1, vcc_lo, v3, v5, vcc_lo
	v_add_co_ci_u32_e64 v9, null, s15, 0, s0
	global_load_dword v6, v[0:1], off
	v_add_co_u32 v0, vcc_lo, v0, s16
	v_add_co_ci_u32_e32 v1, vcc_lo, s17, v1, vcc_lo
	s_clause 0x3
	global_load_dword v56, v32, s[14:15]
	global_load_dword v55, v32, s[14:15] offset:60
	global_load_dword v54, v32, s[14:15] offset:120
	;; [unrolled: 1-line block ×3, first 2 shown]
	v_add_co_u32 v4, vcc_lo, v0, s16
	v_add_co_ci_u32_e32 v5, vcc_lo, s17, v1, vcc_lo
	s_clause 0x1
	global_load_dword v11, v[0:1], off
	global_load_dword v12, v[4:5], off
	v_add_co_u32 v0, vcc_lo, v4, s16
	v_add_co_ci_u32_e32 v1, vcc_lo, s17, v5, vcc_lo
	v_add_co_u32 v4, vcc_lo, v0, s16
	v_add_co_ci_u32_e32 v5, vcc_lo, s17, v1, vcc_lo
	global_load_dword v13, v[0:1], off
	v_add_co_u32 v0, vcc_lo, v4, s16
	v_add_co_ci_u32_e32 v1, vcc_lo, s17, v5, vcc_lo
	global_load_dword v51, v32, s[14:15] offset:240
	global_load_dword v14, v[4:5], off
	global_load_dword v15, v[0:1], off
	v_add_co_u32 v0, vcc_lo, v0, s16
	v_add_co_ci_u32_e32 v1, vcc_lo, s17, v1, vcc_lo
	s_clause 0x2
	global_load_dword v50, v32, s[14:15] offset:300
	global_load_dword v49, v32, s[14:15] offset:360
	;; [unrolled: 1-line block ×3, first 2 shown]
	v_add_co_u32 v4, vcc_lo, v0, s16
	v_add_co_ci_u32_e32 v5, vcc_lo, s17, v1, vcc_lo
	global_load_dword v16, v[0:1], off
	v_add_co_u32 v0, vcc_lo, v4, s16
	v_add_co_ci_u32_e32 v1, vcc_lo, s17, v5, vcc_lo
	global_load_dword v17, v[4:5], off
	;; [unrolled: 3-line block ×3, first 2 shown]
	v_add_co_u32 v0, vcc_lo, v4, s16
	v_add_co_ci_u32_e32 v1, vcc_lo, s17, v5, vcc_lo
	global_load_dword v47, v32, s[14:15] offset:480
	global_load_dword v4, v[4:5], off
	global_load_dword v5, v[0:1], off
	s_clause 0x1
	global_load_dword v46, v32, s[14:15] offset:540
	global_load_dword v45, v32, s[14:15] offset:600
	v_cmp_gt_u16_e32 vcc_lo, 4, v7
	s_load_dwordx4 s[8:11], s[2:3], 0x0
	s_waitcnt vmcnt(21)
	v_lshrrev_b32_e32 v7, 16, v6
	s_waitcnt vmcnt(20)
	v_mul_f16_sdwa v19, v56, v6 dst_sel:DWORD dst_unused:UNUSED_PAD src0_sel:WORD_1 src1_sel:DWORD
	v_mul_f16_sdwa v20, v56, v7 dst_sel:DWORD dst_unused:UNUSED_PAD src0_sel:WORD_1 src1_sel:DWORD
	v_fma_f16 v7, v56, v7, -v19
	s_waitcnt vmcnt(16)
	v_lshrrev_b32_e32 v21, 16, v11
	v_mul_f16_sdwa v22, v55, v11 dst_sel:DWORD dst_unused:UNUSED_PAD src0_sel:WORD_1 src1_sel:DWORD
	v_fmac_f16_e32 v20, v56, v6
	s_waitcnt vmcnt(15)
	v_lshrrev_b32_e32 v19, 16, v12
	v_mul_f16_sdwa v6, v55, v21 dst_sel:DWORD dst_unused:UNUSED_PAD src0_sel:WORD_1 src1_sel:DWORD
	v_fma_f16 v21, v55, v21, -v22
	v_mul_f16_sdwa v22, v54, v12 dst_sel:DWORD dst_unused:UNUSED_PAD src0_sel:WORD_1 src1_sel:DWORD
	v_pack_b32_f16 v7, v20, v7
	v_fmac_f16_e32 v6, v55, v11
	v_mul_f16_sdwa v11, v54, v19 dst_sel:DWORD dst_unused:UNUSED_PAD src0_sel:WORD_1 src1_sel:DWORD
	v_fma_f16 v19, v54, v19, -v22
	s_waitcnt vmcnt(14)
	v_lshrrev_b32_e32 v20, 16, v13
	v_mul_f16_sdwa v23, v52, v13 dst_sel:DWORD dst_unused:UNUSED_PAD src0_sel:WORD_1 src1_sel:DWORD
	v_pack_b32_f16 v6, v6, v21
	v_fmac_f16_e32 v11, v54, v12
	v_mul_f16_sdwa v12, v52, v20 dst_sel:DWORD dst_unused:UNUSED_PAD src0_sel:WORD_1 src1_sel:DWORD
	s_waitcnt vmcnt(12)
	v_lshrrev_b32_e32 v21, 16, v14
	v_fma_f16 v20, v52, v20, -v23
	v_mul_f16_sdwa v22, v51, v14 dst_sel:DWORD dst_unused:UNUSED_PAD src0_sel:WORD_1 src1_sel:DWORD
	ds_write2_b32 v42, v7, v6 offset1:15
	v_pack_b32_f16 v6, v11, v19
	v_fmac_f16_e32 v12, v52, v13
	v_mul_f16_sdwa v7, v51, v21 dst_sel:DWORD dst_unused:UNUSED_PAD src0_sel:WORD_1 src1_sel:DWORD
	s_waitcnt vmcnt(11)
	v_lshrrev_b32_e32 v11, 16, v15
	s_waitcnt vmcnt(10)
	v_mul_f16_sdwa v13, v50, v15 dst_sel:DWORD dst_unused:UNUSED_PAD src0_sel:WORD_1 src1_sel:DWORD
	v_fma_f16 v19, v51, v21, -v22
	v_pack_b32_f16 v12, v12, v20
	v_fmac_f16_e32 v7, v51, v14
	v_mul_f16_sdwa v14, v50, v11 dst_sel:DWORD dst_unused:UNUSED_PAD src0_sel:WORD_1 src1_sel:DWORD
	v_fma_f16 v11, v50, v11, -v13
	s_waitcnt vmcnt(7)
	v_lshrrev_b32_e32 v13, 16, v16
	ds_write2_b32 v42, v6, v12 offset0:30 offset1:45
	v_pack_b32_f16 v6, v7, v19
	v_fmac_f16_e32 v14, v50, v15
	s_waitcnt vmcnt(6)
	v_lshrrev_b32_e32 v7, 16, v17
	v_mul_f16_sdwa v12, v49, v13 dst_sel:DWORD dst_unused:UNUSED_PAD src0_sel:WORD_1 src1_sel:DWORD
	v_mul_f16_sdwa v15, v48, v17 dst_sel:DWORD dst_unused:UNUSED_PAD src0_sel:WORD_1 src1_sel:DWORD
	;; [unrolled: 1-line block ×3, first 2 shown]
	v_pack_b32_f16 v11, v14, v11
	v_mul_f16_sdwa v14, v48, v7 dst_sel:DWORD dst_unused:UNUSED_PAD src0_sel:WORD_1 src1_sel:DWORD
	v_fmac_f16_e32 v12, v49, v16
	s_waitcnt vmcnt(5)
	v_lshrrev_b32_e32 v16, 16, v18
	v_fma_f16 v7, v48, v7, -v15
	s_waitcnt vmcnt(4)
	v_mul_f16_sdwa v15, v47, v18 dst_sel:DWORD dst_unused:UNUSED_PAD src0_sel:WORD_1 src1_sel:DWORD
	v_fmac_f16_e32 v14, v48, v17
	s_waitcnt vmcnt(3)
	v_lshrrev_b32_e32 v17, 16, v4
	v_fma_f16 v13, v49, v13, -v20
	s_waitcnt vmcnt(2)
	v_lshrrev_b32_e32 v20, 16, v5
	v_mul_f16_sdwa v19, v47, v16 dst_sel:DWORD dst_unused:UNUSED_PAD src0_sel:WORD_1 src1_sel:DWORD
	v_fma_f16 v15, v47, v16, -v15
	s_waitcnt vmcnt(1)
	v_mul_f16_sdwa v16, v46, v4 dst_sel:DWORD dst_unused:UNUSED_PAD src0_sel:WORD_1 src1_sel:DWORD
	v_mul_f16_sdwa v21, v46, v17 dst_sel:DWORD dst_unused:UNUSED_PAD src0_sel:WORD_1 src1_sel:DWORD
	s_waitcnt vmcnt(0)
	v_mul_f16_sdwa v22, v45, v5 dst_sel:DWORD dst_unused:UNUSED_PAD src0_sel:WORD_1 src1_sel:DWORD
	v_mul_f16_sdwa v23, v45, v20 dst_sel:DWORD dst_unused:UNUSED_PAD src0_sel:WORD_1 src1_sel:DWORD
	v_fmac_f16_e32 v19, v47, v18
	v_fma_f16 v16, v46, v17, -v16
	v_fmac_f16_e32 v21, v46, v4
	v_fma_f16 v4, v45, v20, -v22
	v_fmac_f16_e32 v23, v45, v5
	v_pack_b32_f16 v5, v12, v13
	v_pack_b32_f16 v7, v14, v7
	v_pack_b32_f16 v12, v19, v15
	v_pack_b32_f16 v13, v21, v16
	v_pack_b32_f16 v4, v23, v4
	ds_write2_b32 v42, v6, v11 offset0:60 offset1:75
	ds_write2_b32 v42, v5, v7 offset0:90 offset1:105
	ds_write2_b32 v42, v12, v13 offset0:120 offset1:135
	ds_write_b32 v42, v4 offset:600
	s_and_saveexec_b32 s1, vcc_lo
	s_cbranch_execz .LBB0_3
; %bb.2:
	v_mad_u64_u32 v[0:1], null, 0xfffffdd4, s12, v[0:1]
	v_mad_u64_u32 v[4:5], null, s12, v44, 0
	s_mul_i32 s0, s13, 0xfffffdd4
	s_mul_i32 s2, s13, 0x78
	s_sub_i32 s0, s0, s12
	v_add_nc_u32_e32 v1, s0, v1
	v_add_co_u32 v11, s0, v0, s16
	v_mad_u64_u32 v[5:6], null, s13, v44, v[5:6]
	v_mad_u64_u32 v[6:7], null, s12, v43, 0
	v_add_co_ci_u32_e64 v12, s0, s17, v1, s0
	v_add_co_u32 v13, s0, v11, s16
	global_load_dword v17, v[0:1], off
	v_add_co_ci_u32_e64 v14, s0, s17, v12, s0
	v_mad_u64_u32 v[15:16], null, s13, v43, v[7:8]
	v_lshlrev_b64 v[0:1], 2, v[4:5]
	v_mad_u64_u32 v[4:5], null, 0x78, s12, v[13:14]
	global_load_dword v11, v[11:12], off
	v_add_co_u32 v0, s0, v2, v0
	v_mov_b32_e32 v7, v15
	v_add_co_ci_u32_e64 v1, s0, v3, v1, s0
	v_add_nc_u32_e32 v5, s2, v5
	global_load_dword v12, v[8:9], off offset:44
	global_load_dword v13, v[13:14], off
	global_load_dword v14, v[0:1], off
	v_lshlrev_b64 v[0:1], 2, v[6:7]
	global_load_dword v15, v[8:9], off offset:104
	global_load_dword v16, v[4:5], off
	s_clause 0x2
	global_load_dword v18, v[8:9], off offset:164
	global_load_dword v19, v[8:9], off offset:224
	global_load_dword v20, v[8:9], off offset:284
	v_add_co_u32 v4, s0, v4, s16
	v_add_co_ci_u32_e64 v5, s0, s17, v5, s0
	v_add_co_u32 v0, s0, v2, v0
	v_add_co_ci_u32_e64 v1, s0, v3, v1, s0
	;; [unrolled: 2-line block ×3, first 2 shown]
	global_load_dword v6, v[0:1], off
	global_load_dword v7, v[8:9], off offset:464
	global_load_dword v21, v[4:5], off
	s_clause 0x1
	global_load_dword v22, v[8:9], off offset:344
	global_load_dword v23, v[8:9], off offset:404
	v_mad_u64_u32 v[0:1], null, 0x78, s12, v[2:3]
	global_load_dword v24, v[2:3], off
	v_add_nc_u32_e32 v1, s2, v1
	v_add_co_u32 v2, s0, v0, s16
	v_add_co_ci_u32_e64 v3, s0, s17, v1, s0
	v_add_co_u32 v4, s0, v2, s16
	v_add_co_ci_u32_e64 v5, s0, s17, v3, s0
	global_load_dword v0, v[0:1], off
	global_load_dword v1, v[8:9], off offset:524
	global_load_dword v2, v[2:3], off
	global_load_dword v3, v[4:5], off
	s_clause 0x1
	global_load_dword v4, v[8:9], off offset:584
	global_load_dword v5, v[8:9], off offset:644
	s_waitcnt vmcnt(21)
	v_lshrrev_b32_e32 v25, 16, v17
	s_waitcnt vmcnt(20)
	v_lshrrev_b32_e32 v27, 16, v11
	s_waitcnt vmcnt(19)
	v_mul_f16_sdwa v26, v12, v17 dst_sel:DWORD dst_unused:UNUSED_PAD src0_sel:WORD_1 src1_sel:DWORD
	v_mul_f16_sdwa v28, v12, v25 dst_sel:DWORD dst_unused:UNUSED_PAD src0_sel:WORD_1 src1_sel:DWORD
	s_waitcnt vmcnt(16)
	v_mul_f16_sdwa v29, v15, v11 dst_sel:DWORD dst_unused:UNUSED_PAD src0_sel:WORD_1 src1_sel:DWORD
	v_lshrrev_b32_e32 v30, 16, v13
	v_fma_f16 v25, v12, v25, -v26
	v_mul_f16_sdwa v26, v15, v27 dst_sel:DWORD dst_unused:UNUSED_PAD src0_sel:WORD_1 src1_sel:DWORD
	v_fmac_f16_e32 v28, v12, v17
	v_fma_f16 v12, v15, v27, -v29
	s_waitcnt vmcnt(14)
	v_mul_f16_sdwa v17, v18, v13 dst_sel:DWORD dst_unused:UNUSED_PAD src0_sel:WORD_1 src1_sel:DWORD
	v_fmac_f16_e32 v26, v15, v11
	v_mul_f16_sdwa v11, v18, v30 dst_sel:DWORD dst_unused:UNUSED_PAD src0_sel:WORD_1 src1_sel:DWORD
	v_pack_b32_f16 v15, v28, v25
	v_fma_f16 v17, v18, v30, -v17
	v_lshrrev_b32_e32 v25, 16, v14
	v_pack_b32_f16 v12, v26, v12
	v_fmac_f16_e32 v11, v18, v13
	v_lshrrev_b32_e32 v13, 16, v16
	s_waitcnt vmcnt(12)
	v_mul_f16_sdwa v18, v20, v16 dst_sel:DWORD dst_unused:UNUSED_PAD src0_sel:WORD_1 src1_sel:DWORD
	v_mul_f16_sdwa v26, v19, v14 dst_sel:DWORD dst_unused:UNUSED_PAD src0_sel:WORD_1 src1_sel:DWORD
	ds_write2_b32 v42, v15, v12 offset0:11 offset1:26
	s_waitcnt vmcnt(9)
	v_lshrrev_b32_e32 v15, 16, v21
	v_mul_f16_sdwa v12, v20, v13 dst_sel:DWORD dst_unused:UNUSED_PAD src0_sel:WORD_1 src1_sel:DWORD
	v_lshrrev_b32_e32 v27, 16, v6
	v_pack_b32_f16 v11, v11, v17
	s_waitcnt vmcnt(8)
	v_mul_f16_sdwa v17, v22, v21 dst_sel:DWORD dst_unused:UNUSED_PAD src0_sel:WORD_1 src1_sel:DWORD
	v_fma_f16 v13, v20, v13, -v18
	v_fmac_f16_e32 v12, v20, v16
	v_mul_f16_sdwa v16, v22, v15 dst_sel:DWORD dst_unused:UNUSED_PAD src0_sel:WORD_1 src1_sel:DWORD
	v_mul_f16_sdwa v18, v19, v25 dst_sel:DWORD dst_unused:UNUSED_PAD src0_sel:WORD_1 src1_sel:DWORD
	;; [unrolled: 1-line block ×3, first 2 shown]
	v_fma_f16 v25, v19, v25, -v26
	v_mul_f16_sdwa v26, v7, v27 dst_sel:DWORD dst_unused:UNUSED_PAD src0_sel:WORD_1 src1_sel:DWORD
	v_fma_f16 v15, v22, v15, -v17
	s_waitcnt vmcnt(6)
	v_lshrrev_b32_e32 v17, 16, v24
	v_mul_f16_sdwa v20, v23, v24 dst_sel:DWORD dst_unused:UNUSED_PAD src0_sel:WORD_1 src1_sel:DWORD
	v_fmac_f16_e32 v16, v22, v21
	v_fmac_f16_e32 v18, v19, v14
	v_fma_f16 v27, v7, v27, -v28
	v_fmac_f16_e32 v26, v7, v6
	v_pack_b32_f16 v6, v12, v13
	v_mul_f16_sdwa v7, v23, v17 dst_sel:DWORD dst_unused:UNUSED_PAD src0_sel:WORD_1 src1_sel:DWORD
	v_fma_f16 v12, v23, v17, -v20
	v_pack_b32_f16 v14, v16, v15
	s_waitcnt vmcnt(5)
	v_lshrrev_b32_e32 v15, 16, v0
	s_waitcnt vmcnt(4)
	v_mul_f16_sdwa v16, v1, v0 dst_sel:DWORD dst_unused:UNUSED_PAD src0_sel:WORD_1 src1_sel:DWORD
	s_waitcnt vmcnt(3)
	v_lshrrev_b32_e32 v17, 16, v2
	v_pack_b32_f16 v13, v18, v25
	s_waitcnt vmcnt(2)
	v_lshrrev_b32_e32 v18, 16, v3
	v_mul_f16_sdwa v19, v1, v15 dst_sel:DWORD dst_unused:UNUSED_PAD src0_sel:WORD_1 src1_sel:DWORD
	v_fma_f16 v15, v1, v15, -v16
	s_waitcnt vmcnt(1)
	v_mul_f16_sdwa v16, v4, v2 dst_sel:DWORD dst_unused:UNUSED_PAD src0_sel:WORD_1 src1_sel:DWORD
	v_mul_f16_sdwa v20, v4, v17 dst_sel:DWORD dst_unused:UNUSED_PAD src0_sel:WORD_1 src1_sel:DWORD
	s_waitcnt vmcnt(0)
	v_mul_f16_sdwa v21, v5, v18 dst_sel:DWORD dst_unused:UNUSED_PAD src0_sel:WORD_1 src1_sel:DWORD
	v_mul_f16_sdwa v22, v5, v3 dst_sel:DWORD dst_unused:UNUSED_PAD src0_sel:WORD_1 src1_sel:DWORD
	v_fmac_f16_e32 v7, v23, v24
	v_fmac_f16_e32 v19, v1, v0
	v_fma_f16 v0, v4, v17, -v16
	v_fmac_f16_e32 v20, v4, v2
	v_fmac_f16_e32 v21, v5, v3
	v_fma_f16 v1, v5, v18, -v22
	v_pack_b32_f16 v2, v7, v12
	v_pack_b32_f16 v3, v26, v27
	;; [unrolled: 1-line block ×5, first 2 shown]
	ds_write2_b32 v42, v11, v13 offset0:41 offset1:56
	ds_write2_b32 v42, v6, v14 offset0:71 offset1:86
	;; [unrolled: 1-line block ×4, first 2 shown]
	ds_write_b32 v42, v1 offset:644
.LBB0_3:
	s_or_b32 exec_lo, exec_lo, s1
	s_waitcnt lgkmcnt(0)
	s_barrier
	buffer_gl0_inv
	ds_read2_b32 v[13:14], v42 offset1:15
	ds_read2_b32 v[22:23], v42 offset0:30 offset1:45
	ds_read2_b32 v[18:19], v42 offset0:60 offset1:75
	;; [unrolled: 1-line block ×4, first 2 shown]
	ds_read_b32 v67, v42 offset:600
	s_load_dwordx2 s[2:3], s[4:5], 0x8
	v_mov_b32_e32 v0, 0
                                        ; implicit-def: $vgpr4
                                        ; implicit-def: $vgpr7
                                        ; implicit-def: $vgpr2
                                        ; implicit-def: $vgpr17
                                        ; implicit-def: $vgpr26
	s_and_saveexec_b32 s0, vcc_lo
	s_cbranch_execz .LBB0_5
; %bb.4:
	ds_read2_b32 v[0:1], v42 offset0:11 offset1:26
	ds_read2_b32 v[16:17], v42 offset0:41 offset1:56
	;; [unrolled: 1-line block ×5, first 2 shown]
	ds_read_b32 v26, v42 offset:644
.LBB0_5:
	s_or_b32 exec_lo, exec_lo, s0
	s_waitcnt lgkmcnt(0)
	v_pk_add_f16 v63, v1, v26 neg_lo:[0,1] neg_hi:[0,1]
	v_mov_b32_e32 v59, 0xbbeb
	v_pk_add_f16 v11, v13, v14
	v_pk_add_f16 v29, v26, v1
	v_pk_add_f16 v66, v16, v3 neg_lo:[0,1] neg_hi:[0,1]
	v_mov_b32_e32 v60, 0x3482
	v_mul_f16_sdwa v31, v63, v59 dst_sel:DWORD dst_unused:UNUSED_PAD src0_sel:WORD_1 src1_sel:DWORD
	v_mov_b32_e32 v69, 0xbb47
	v_pk_add_f16 v33, v3, v16
	v_pk_add_f16 v64, v17, v2 neg_lo:[0,1] neg_hi:[0,1]
	v_mul_f16_sdwa v30, v66, v60 dst_sel:DWORD dst_unused:UNUSED_PAD src0_sel:WORD_1 src1_sel:DWORD
	v_fmamk_f16 v36, v29, 0xb08e, v31
	v_mov_b32_e32 v15, 0x3b47
	v_pk_add_f16 v11, v11, v22
	v_mov_b32_e32 v41, 0xba0c
	v_mul_f16_sdwa v28, v63, v69 dst_sel:DWORD dst_unused:UNUSED_PAD src0_sel:WORD_1 src1_sel:DWORD
	v_mov_b32_e32 v65, 0xb853
	v_fmamk_f16 v71, v33, 0xbbad, v30
	v_pk_add_f16 v34, v2, v17
	v_pk_add_f16 v61, v6, v5 neg_lo:[0,1] neg_hi:[0,1]
	v_mul_f16_sdwa v39, v64, v15 dst_sel:DWORD dst_unused:UNUSED_PAD src0_sel:WORD_1 src1_sel:DWORD
	v_pk_add_f16 v11, v11, v23
	v_add_f16_e32 v36, v36, v0
	v_mul_f16_sdwa v27, v66, v41 dst_sel:DWORD dst_unused:UNUSED_PAD src0_sel:WORD_1 src1_sel:DWORD
	v_fmamk_f16 v12, v29, 0x36a6, v28
	v_pk_add_f16 v62, v5, v6
	v_mul_f16_sdwa v38, v61, v65 dst_sel:DWORD dst_unused:UNUSED_PAD src0_sel:WORD_1 src1_sel:DWORD
	v_fmamk_f16 v73, v34, 0x36a6, v39
	v_pk_add_f16 v11, v11, v18
	v_add_f16_e32 v71, v71, v36
	v_fmamk_f16 v40, v33, 0xb93d, v27
	v_mov_b32_e32 v70, 0x3beb
	v_mul_f16_sdwa v37, v64, v60 dst_sel:DWORD dst_unused:UNUSED_PAD src0_sel:WORD_1 src1_sel:DWORD
	v_fmamk_f16 v75, v62, 0x3abb, v38
	v_add_f16_e32 v12, v12, v0
	v_pk_add_f16 v11, v11, v19
	v_add_f16_e32 v71, v73, v71
	v_mul_f16_sdwa v35, v61, v70 dst_sel:DWORD dst_unused:UNUSED_PAD src0_sel:WORD_1 src1_sel:DWORD
	v_fmamk_f16 v72, v34, 0xbbad, v37
	v_pk_add_f16 v68, v7, v4 neg_lo:[0,1] neg_hi:[0,1]
	v_mov_b32_e32 v76, 0x3853
	v_add_f16_e32 v12, v40, v12
	v_pk_add_f16 v11, v11, v20
	v_add_f16_e32 v71, v75, v71
	v_pk_add_f16 v75, v14, v67 neg_lo:[0,1] neg_hi:[0,1]
	v_fmamk_f16 v74, v62, 0xb08e, v35
	v_mul_f16_sdwa v36, v68, v76 dst_sel:DWORD dst_unused:UNUSED_PAD src0_sel:WORD_1 src1_sel:DWORD
	v_add_f16_e32 v12, v72, v12
	v_pk_add_f16 v11, v11, v21
	v_pk_add_f16 v76, v67, v14
	v_mul_f16_sdwa v77, v75, v65 dst_sel:DWORD dst_unused:UNUSED_PAD src0_sel:WORD_1 src1_sel:DWORD
	v_pk_add_f16 v58, v4, v7
	v_mul_f16_sdwa v40, v68, v41 dst_sel:DWORD dst_unused:UNUSED_PAD src0_sel:WORD_1 src1_sel:DWORD
	v_add_f16_e32 v12, v74, v12
	v_pk_add_f16 v74, v11, v24
	v_pk_add_f16 v14, v25, v22
	v_pk_add_f16 v78, v22, v25 neg_lo:[0,1] neg_hi:[0,1]
	v_pk_add_f16 v22, v24, v23
	v_pk_add_f16 v79, v23, v24 neg_lo:[0,1] neg_hi:[0,1]
	;; [unrolled: 2-line block ×3, first 2 shown]
	v_fma_f16 v21, v76, 0x3abb, -v77
	v_pk_mul_f16 v24, 0x3abb36a6, v76
	v_fmamk_f16 v73, v58, 0xb93d, v40
	v_pk_add_f16 v74, v74, v25
	v_lshrrev_b32_e32 v84, 16, v76
	v_add_f16_e32 v25, v13, v21
	v_pk_fma_f16 v82, 0xbb47b853, v75, v24 op_sel:[0,0,1] op_sel_hi:[1,1,0] neg_lo:[0,1,0] neg_hi:[0,1,0]
	v_pk_mul_f16 v21, 0x36a6b93d, v14
	v_pk_fma_f16 v83, 0xbb47b853, v75, v24 op_sel:[0,0,1] op_sel_hi:[1,1,0]
	v_mul_f16_e32 v85, 0xbb47, v75
	v_fmamk_f16 v72, v58, 0x3abb, v36
	v_add_f16_e32 v11, v73, v71
	v_pk_add_f16 v18, v20, v19
	v_pk_add_f16 v81, v19, v20 neg_lo:[0,1] neg_hi:[0,1]
	v_mul_f16_sdwa v19, v78, v69 dst_sel:DWORD dst_unused:UNUSED_PAD src0_sel:WORD_1 src1_sel:DWORD
	v_pk_fma_f16 v20, 0xba0cbb47, v78, v21 op_sel:[0,0,1] op_sel_hi:[1,1,0] neg_lo:[0,1,0] neg_hi:[0,1,0]
	v_bfi_b32 v71, 0xffff, v83, v82
	v_pk_fma_f16 v86, 0xba0cbb47, v78, v21 op_sel:[0,0,1] op_sel_hi:[1,1,0]
	v_fmamk_f16 v21, v84, 0x36a6, v85
	v_lshrrev_b32_e32 v87, 16, v14
	v_mul_f16_e32 v88, 0xba0c, v78
	v_pk_mul_f16 v73, 0xb08ebbad, v22
	v_add_f16_e32 v12, v72, v12
	v_fma_f16 v24, v14, 0x36a6, -v19
	v_pk_add_f16 v72, v13, v71 op_sel:[1,0] op_sel_hi:[0,1]
	v_bfi_b32 v89, 0xffff, v86, v20
	v_add_f16_sdwa v90, v13, v21 dst_sel:DWORD dst_unused:UNUSED_PAD src0_sel:WORD_1 src1_sel:DWORD
	v_fmamk_f16 v91, v87, 0xb93d, v88
	v_mul_f16_sdwa v71, v79, v59 dst_sel:DWORD dst_unused:UNUSED_PAD src0_sel:WORD_1 src1_sel:DWORD
	v_pk_fma_f16 v21, 0x3482bbeb, v79, v73 op_sel:[0,0,1] op_sel_hi:[1,1,0] neg_lo:[0,1,0] neg_hi:[0,1,0]
	v_pk_fma_f16 v92, 0x3482bbeb, v79, v73 op_sel:[0,0,1] op_sel_hi:[1,1,0]
	v_add_f16_e32 v25, v24, v25
	v_pk_add_f16 v72, v89, v72
	v_add_f16_e32 v73, v91, v90
	v_fma_f16 v89, v22, 0xb08e, -v71
	v_bfi_b32 v90, 0xffff, v92, v21
	v_lshrrev_b32_e32 v91, 16, v22
	v_mul_f16_e32 v93, 0x3482, v79
	v_mul_f16_sdwa v24, v80, v41 dst_sel:DWORD dst_unused:UNUSED_PAD src0_sel:WORD_1 src1_sel:DWORD
	v_pk_mul_f16 v94, 0xb93db08e, v23
	v_add_f16_e32 v89, v89, v25
	v_pk_add_f16 v90, v90, v72
	v_fmamk_f16 v72, v91, 0xbbad, v93
	v_fma_f16 v95, v23, 0xb93d, -v24
	v_pk_fma_f16 v25, 0x3bebba0c, v80, v94 op_sel:[0,0,1] op_sel_hi:[1,1,0] neg_lo:[0,1,0] neg_hi:[0,1,0]
	v_pk_fma_f16 v94, 0x3bebba0c, v80, v94 op_sel:[0,0,1] op_sel_hi:[1,1,0]
	v_pk_mul_f16 v99, 0xbbad3abb, v18
	v_lshrrev_b32_e32 v96, 16, v23
	v_mul_f16_e32 v97, 0x3beb, v80
	v_add_f16_e32 v98, v72, v73
	v_add_f16_e32 v89, v95, v89
	v_bfi_b32 v95, 0xffff, v94, v25
	v_mov_b32_e32 v101, 0xb482
	v_pk_fma_f16 v72, 0x3853b482, v81, v99 op_sel:[0,0,1] op_sel_hi:[1,1,0] neg_lo:[0,1,0] neg_hi:[0,1,0]
	v_pk_fma_f16 v102, 0x3853b482, v81, v99 op_sel:[0,0,1] op_sel_hi:[1,1,0]
	v_fmamk_f16 v100, v96, 0xb08e, v97
	v_lshrrev_b32_e32 v103, 16, v18
	v_mul_f16_e32 v104, 0x3853, v81
	v_mul_f16_sdwa v73, v81, v101 dst_sel:DWORD dst_unused:UNUSED_PAD src0_sel:WORD_1 src1_sel:DWORD
	v_pk_add_f16 v90, v95, v90
	v_bfi_b32 v95, 0xffff, v102, v72
	v_add_f16_e32 v98, v100, v98
	v_fmamk_f16 v100, v103, 0x3abb, v104
	v_fma_f16 v102, v18, 0xbbad, -v73
	v_mul_f16_sdwa v105, v75, v59 dst_sel:DWORD dst_unused:UNUSED_PAD src0_sel:WORD_1 src1_sel:DWORD
	v_pk_add_f16 v90, v95, v90
	v_mul_f16_e32 v95, 0xbbeb, v75
	v_add_f16_e32 v98, v100, v98
	v_add_f16_e32 v89, v102, v89
	v_fma_f16 v100, v76, 0xb08e, -v105
	v_mul_f16_sdwa v102, v78, v60 dst_sel:DWORD dst_unused:UNUSED_PAD src0_sel:WORD_1 src1_sel:DWORD
	v_fmamk_f16 v60, v84, 0xb08e, v95
	v_mul_f16_e32 v106, 0x3482, v78
	v_mul_f16_sdwa v107, v75, v41 dst_sel:DWORD dst_unused:UNUSED_PAD src0_sel:WORD_1 src1_sel:DWORD
	v_add_f16_e32 v100, v13, v100
	v_fma_f16 v108, v14, 0xbbad, -v102
	v_add_f16_sdwa v60, v13, v60 dst_sel:DWORD dst_unused:UNUSED_PAD src0_sel:WORD_1 src1_sel:DWORD
	v_fmamk_f16 v109, v87, 0xbbad, v106
	v_fma_f16 v110, v76, 0xb93d, -v107
	v_mul_f16_e32 v112, 0xba0c, v75
	v_add_f16_e32 v100, v108, v100
	v_mul_f16_e32 v113, 0x3beb, v78
	v_add_f16_e32 v60, v109, v60
	v_add_f16_e32 v108, v13, v110
	v_mul_f16_sdwa v109, v78, v70 dst_sel:DWORD dst_unused:UNUSED_PAD src0_sel:WORD_1 src1_sel:DWORD
	v_fmamk_f16 v110, v84, 0xb93d, v112
	v_mul_f16_sdwa v114, v79, v15 dst_sel:DWORD dst_unused:UNUSED_PAD src0_sel:WORD_1 src1_sel:DWORD
	v_mul_f16_e32 v115, 0x3b47, v79
	v_fmamk_f16 v117, v87, 0xb08e, v113
	v_fma_f16 v116, v14, 0xb08e, -v109
	v_add_f16_sdwa v110, v13, v110 dst_sel:DWORD dst_unused:UNUSED_PAD src0_sel:WORD_1 src1_sel:DWORD
	v_fma_f16 v118, v22, 0x36a6, -v114
	v_fmamk_f16 v119, v91, 0x36a6, v115
	v_mul_f16_sdwa v120, v79, v65 dst_sel:DWORD dst_unused:UNUSED_PAD src0_sel:WORD_1 src1_sel:DWORD
	v_add_f16_e32 v108, v116, v108
	v_add_f16_e32 v110, v117, v110
	;; [unrolled: 1-line block ×4, first 2 shown]
	v_fma_f16 v116, v22, 0x3abb, -v120
	v_mul_f16_e32 v117, 0xb853, v79
	v_mul_f16_sdwa v118, v80, v65 dst_sel:DWORD dst_unused:UNUSED_PAD src0_sel:WORD_1 src1_sel:DWORD
	v_mul_f16_e32 v119, 0xb853, v80
	v_mul_f16_sdwa v121, v80, v101 dst_sel:DWORD dst_unused:UNUSED_PAD src0_sel:WORD_1 src1_sel:DWORD
	v_add_f16_e32 v108, v116, v108
	v_fmamk_f16 v116, v91, 0x3abb, v117
	v_fma_f16 v122, v23, 0x3abb, -v118
	v_fmamk_f16 v123, v96, 0x3abb, v119
	v_fma_f16 v124, v23, 0xbbad, -v121
	v_mul_f16_e32 v125, 0xb482, v80
	v_add_f16_e32 v110, v116, v110
	v_add_f16_e32 v100, v122, v100
	;; [unrolled: 1-line block ×4, first 2 shown]
	v_fmamk_f16 v116, v96, 0xbbad, v125
	v_mul_f16_sdwa v122, v81, v41 dst_sel:DWORD dst_unused:UNUSED_PAD src0_sel:WORD_1 src1_sel:DWORD
	v_mul_f16_sdwa v123, v81, v15 dst_sel:DWORD dst_unused:UNUSED_PAD src0_sel:WORD_1 src1_sel:DWORD
	v_mul_f16_e32 v124, 0x3b47, v81
	v_mul_f16_e32 v126, 0xb93d, v103
	v_mul_lo_u16 v111, v53, 11
	v_add_f16_e32 v110, v116, v110
	v_fma_f16 v116, v18, 0xb93d, -v122
	v_fma_f16 v127, v18, 0x36a6, -v123
	v_fmamk_f16 v128, v103, 0x36a6, v124
	v_fmamk_f16 v129, v81, 0xba0c, v126
	v_and_b32_e32 v111, 0xffff, v111
	v_add_f16_e32 v100, v116, v100
	v_add_f16_e32 v108, v127, v108
	;; [unrolled: 1-line block ×4, first 2 shown]
	v_alignbit_b32 v98, v98, v90, 16
	v_pack_b32_f16 v89, v89, v90
	v_lshl_add_u32 v60, v111, 2, v57
	v_pack_b32_f16 v90, v108, v110
	v_pack_b32_f16 v100, v100, v116
	s_barrier
	buffer_gl0_inv
	ds_write2_b32 v60, v89, v98 offset0:1 offset1:2
	ds_write2_b32 v60, v100, v90 offset0:3 offset1:4
	v_fma_f16 v85, v84, 0x36a6, -v85
	v_pk_mul_f16 v90, 0xbbad, v76 op_sel_hi:[0,1]
	v_fmac_f16_e32 v77, 0x3abb, v76
	v_alignbit_b32 v83, s0, v83, 16
	v_fmac_f16_e32 v105, 0xb08e, v76
	v_fmac_f16_e32 v107, 0xb93d, v76
	v_pk_fma_f16 v76, 0xb482, v75, v90 op_sel:[0,0,1] op_sel_hi:[0,1,0] neg_lo:[0,1,0] neg_hi:[0,1,0]
	v_add_f16_e32 v100, v13, v77
	v_pk_add_f16 v77, v13, v83
	v_add_f16_sdwa v83, v13, v85 dst_sel:DWORD dst_unused:UNUSED_PAD src0_sel:WORD_1 src1_sel:DWORD
	v_pk_mul_f16 v85, 0x3abb, v14 op_sel_hi:[0,1]
	v_fma_f16 v89, v84, 0xb08e, -v95
	v_pk_fma_f16 v75, 0xb482, v75, v90 op_sel:[0,0,1] op_sel_hi:[0,1,0]
	v_alignbit_b32 v90, s0, v76, 16
	v_add_f16_e32 v95, v13, v105
	v_add_f16_e32 v98, v13, v107
	v_pk_fma_f16 v105, 0x3853, v78, v85 op_sel:[0,0,1] op_sel_hi:[0,1,0] neg_lo:[0,1,0] neg_hi:[0,1,0]
	v_pk_mul_f16 v107, 0xb93d, v22 op_sel_hi:[0,1]
	v_alignbit_b32 v108, s0, v13, 16
	v_pk_add_f16 v90, v13, v90
	v_pk_add_f16 v75, v13, v75 op_sel:[1,0] op_sel_hi:[0,1]
	v_alignbit_b32 v110, s0, v105, 16
	v_pk_fma_f16 v78, 0x3853, v78, v85 op_sel:[0,0,1] op_sel_hi:[0,1,0]
	v_pk_fma_f16 v85, 0xba0c, v79, v107 op_sel:[0,0,1] op_sel_hi:[0,1,0] neg_lo:[0,1,0] neg_hi:[0,1,0]
	v_pk_add_f16 v76, v108, v76
	v_pk_mul_f16 v108, 0x36a6, v23 op_sel_hi:[0,1]
	v_pk_add_f16 v90, v110, v90
	v_pk_add_f16 v75, v78, v75
	v_alignbit_b32 v78, s0, v85, 16
	v_pk_fma_f16 v79, 0xba0c, v79, v107 op_sel:[0,0,1] op_sel_hi:[0,1,0]
	v_pk_fma_f16 v107, 0x3b47, v80, v108 op_sel:[0,0,1] op_sel_hi:[0,1,0] neg_lo:[0,1,0] neg_hi:[0,1,0]
	v_fma_f16 v84, v84, 0xb93d, -v112
	v_pk_add_f16 v76, v105, v76
	v_pk_add_f16 v78, v78, v90
	;; [unrolled: 1-line block ×3, first 2 shown]
	v_alignbit_b32 v79, s0, v107, 16
	v_pk_fma_f16 v80, 0x3b47, v80, v108 op_sel:[0,0,1] op_sel_hi:[0,1,0]
	v_pk_mul_f16 v90, 0xb08e, v18 op_sel_hi:[0,1]
	v_add_f16_sdwa v89, v13, v89 dst_sel:DWORD dst_unused:UNUSED_PAD src0_sel:WORD_1 src1_sel:DWORD
	v_add_f16_sdwa v84, v13, v84 dst_sel:DWORD dst_unused:UNUSED_PAD src0_sel:WORD_1 src1_sel:DWORD
	;; [unrolled: 1-line block ×3, first 2 shown]
	v_pk_add_f16 v13, v85, v76
	v_pk_add_f16 v76, v79, v78
	;; [unrolled: 1-line block ×3, first 2 shown]
	v_pk_fma_f16 v78, 0xbbeb, v81, v90 op_sel:[0,0,1] op_sel_hi:[0,1,0]
	v_pk_fma_f16 v79, 0xbbeb, v81, v90 op_sel:[0,0,1] op_sel_hi:[0,1,0] neg_lo:[0,1,0] neg_hi:[0,1,0]
	v_fmac_f16_e32 v109, 0xb08e, v14
	v_fma_f16 v80, v87, 0xb08e, -v113
	v_pk_add_f16 v13, v107, v13
	v_pk_add_f16 v75, v78, v75
	v_alignbit_b32 v78, s0, v79, 16
	v_add_f16_e32 v82, v109, v98
	v_fmac_f16_e32 v120, 0x3abb, v22
	v_add_f16_e32 v80, v80, v84
	v_fma_f16 v84, v91, 0x3abb, -v117
	v_pk_add_f16 v13, v79, v13
	v_pk_add_f16 v76, v78, v76
	v_add_f16_e32 v78, v120, v82
	v_fmac_f16_e32 v121, 0xbbad, v23
	v_add_f16_e32 v79, v84, v80
	v_fma_f16 v80, v96, 0xbbad, -v125
	v_alignbit_b32 v107, v13, v75, 16
	v_pack_b32_f16 v108, v76, v75
	v_add_f16_e32 v13, v121, v78
	v_fma_f16 v76, v103, 0x36a6, -v124
	v_add_f16_e32 v75, v80, v79
	v_alignbit_b32 v78, s0, v86, 16
	v_fma_f16 v79, v87, 0xb93d, -v88
	v_fma_f16 v80, v87, 0xbbad, -v106
	;; [unrolled: 1-line block ×3, first 2 shown]
	v_add_f16_e32 v75, v76, v75
	v_pk_add_f16 v76, v78, v77
	v_add_f16_e32 v77, v79, v83
	v_alignbit_b32 v79, s0, v92, 16
	v_add_f16_e32 v78, v80, v89
	v_fma_f16 v80, v91, 0xbbad, -v93
	v_pk_add_f16 v106, v74, v67
	v_fmac_f16_e32 v123, 0x36a6, v18
	v_pk_add_f16 v74, v79, v76
	v_fmac_f16_e32 v102, 0xbbad, v14
	v_add_f16_e32 v76, v80, v77
	v_add_f16_e32 v77, v82, v78
	v_fma_f16 v78, v96, 0x3abb, -v119
	v_pk_mul_f16 v80, 0x3853b482, v81
	v_mul_f16_e32 v81, 0xba0c, v81
	v_lshlrev_b32_e32 v74, 16, v74
	v_fma_f16 v79, v96, 0xb08e, -v97
	v_pack_b32_f16 v78, v78, v99
	v_bfi_b32 v77, 0xffff, v77, v80
	v_pk_add_f16 v80, v126, v81 neg_lo:[0,1] neg_hi:[0,1]
	v_pk_add_f16 v74, v94, v74
	v_add_f16_e32 v13, v123, v13
	v_add_f16_e32 v67, v102, v95
	v_fmac_f16_e32 v114, 0x36a6, v22
	v_add_f16_e32 v76, v79, v76
	v_fma_f16 v79, v103, 0x3abb, -v104
	v_pk_add_f16 v77, v78, v77
	v_bfi_b32 v74, 0xffff, v80, v74
	v_add_f16_e32 v67, v114, v67
	v_fmac_f16_e32 v118, 0x3abb, v23
	v_pack_b32_f16 v99, v13, v75
	v_add_f16_e32 v76, v79, v76
	v_pk_add_f16 v78, v74, v77
	v_mul_f16_sdwa v13, v63, v65 dst_sel:DWORD dst_unused:UNUSED_PAD src0_sel:WORD_1 src1_sel:DWORD
	v_lshrrev_b32_e32 v80, 16, v29
	v_mul_f16_e32 v75, 0xbb47, v63
	v_add_f16_e32 v67, v118, v67
	v_fmac_f16_e32 v122, 0xb93d, v18
	v_alignbit_b32 v102, v76, v78, 16
	v_mul_f16_sdwa v74, v66, v69 dst_sel:DWORD dst_unused:UNUSED_PAD src0_sel:WORD_1 src1_sel:DWORD
	v_fmamk_f16 v69, v29, 0x3abb, v13
	v_fma_f16 v79, v80, 0x36a6, -v75
	v_lshrrev_b32_e32 v81, 16, v33
	v_mul_f16_e32 v76, 0xba0c, v66
	v_add_f16_e32 v67, v122, v67
	v_fmamk_f16 v82, v33, 0x36a6, v74
	v_mul_f16_e32 v77, 0xbbeb, v63
	v_add_f16_e32 v69, v69, v0
	v_add_f16_sdwa v79, v79, v0 dst_sel:DWORD dst_unused:UNUSED_PAD src0_sel:DWORD src1_sel:WORD_1
	v_fma_f16 v83, v81, 0xb93d, -v76
	v_pack_b32_f16 v103, v67, v78
	v_fma_f16 v67, v80, 0xb08e, -v77
	v_add_f16_e32 v69, v82, v69
	v_mul_f16_sdwa v78, v63, v41 dst_sel:DWORD dst_unused:UNUSED_PAD src0_sel:WORD_1 src1_sel:DWORD
	v_add_f16_e32 v83, v83, v79
	v_mul_f16_e32 v82, 0xba0c, v63
	v_mul_f16_e32 v79, 0x3482, v66
	v_add_f16_sdwa v67, v67, v0 dst_sel:DWORD dst_unused:UNUSED_PAD src0_sel:DWORD src1_sel:WORD_1
	v_fma_f16 v84, v29, 0xb93d, -v78
	v_mul_f16_sdwa v70, v66, v70 dst_sel:DWORD dst_unused:UNUSED_PAD src0_sel:WORD_1 src1_sel:DWORD
	v_fmamk_f16 v85, v80, 0xb93d, v82
	v_mul_f16_e32 v87, 0x3beb, v66
	v_fma_f16 v86, v81, 0xbbad, -v79
	v_fmac_f16_e32 v78, 0xb93d, v29
	v_add_f16_e32 v84, v84, v0
	v_fma_f16 v88, v33, 0xb08e, -v70
	v_add_f16_sdwa v85, v85, v0 dst_sel:DWORD dst_unused:UNUSED_PAD src0_sel:DWORD src1_sel:WORD_1
	v_fmamk_f16 v89, v81, 0xb08e, v87
	v_add_f16_e32 v67, v86, v67
	v_pk_mul_f16 v86, 0xb482b853, v63
	v_fmac_f16_e32 v70, 0xb08e, v33
	v_add_f16_e32 v78, v78, v0
	v_add_f16_e32 v84, v88, v84
	;; [unrolled: 1-line block ×3, first 2 shown]
	v_fma_f16 v82, v80, 0xb93d, -v82
	v_pk_fma_f16 v88, 0x3abbbbad, v29, v86 op_sel:[0,0,1] op_sel_hi:[1,1,0] neg_lo:[0,0,1] neg_hi:[0,0,1]
	v_pk_mul_f16 v85, 0x3853bb47, v66
	v_mul_f16_e32 v63, 0xb482, v63
	v_add_f16_e32 v78, v70, v78
	v_mul_f16_sdwa v70, v64, v59 dst_sel:DWORD dst_unused:UNUSED_PAD src0_sel:WORD_1 src1_sel:DWORD
	v_fma_f16 v87, v81, 0xb08e, -v87
	v_add_f16_sdwa v82, v82, v0 dst_sel:DWORD dst_unused:UNUSED_PAD src0_sel:DWORD src1_sel:WORD_1
	v_pk_add_f16 v88, v88, v0
	v_pk_fma_f16 v90, 0x36a63abb, v33, v85 op_sel:[0,0,1] op_sel_hi:[1,1,0] neg_lo:[0,0,1] neg_hi:[0,0,1]
	v_fma_f16 v91, v80, 0xbbad, -v63
	v_mul_f16_e32 v66, 0x3853, v66
	v_mul_f16_sdwa v59, v64, v65 dst_sel:DWORD dst_unused:UNUSED_PAD src0_sel:WORD_1 src1_sel:DWORD
	v_fmamk_f16 v65, v34, 0xb08e, v70
	v_add_f16_e32 v87, v87, v82
	v_pk_add_f16 v92, v90, v88
	v_add_f16_sdwa v90, v91, v0 dst_sel:DWORD dst_unused:UNUSED_PAD src0_sel:DWORD src1_sel:WORD_1
	v_fma_f16 v91, v81, 0x3abb, -v66
	v_lshrrev_b32_e32 v93, 16, v34
	v_mul_f16_e32 v82, 0x3482, v64
	v_fma_f16 v95, v34, 0x3abb, -v59
	v_add_f16_e32 v65, v65, v69
	v_mul_f16_e32 v69, 0xb853, v64
	v_add_f16_e32 v91, v91, v90
	v_fma_f16 v90, v93, 0xbbad, -v82
	v_add_f16_e32 v95, v95, v84
	v_mul_f16_e32 v104, 0xba0c, v64
	v_fmamk_f16 v84, v93, 0x3abb, v69
	v_fma_f16 v69, v93, 0x3abb, -v69
	v_add_f16_e32 v83, v90, v83
	v_pk_mul_f16 v90, 0xba0cbbeb, v64
	v_fmac_f16_e32 v59, 0x3abb, v34
	v_mul_f16_e32 v88, 0x3b47, v64
	v_add_f16_e32 v69, v69, v87
	v_fma_f16 v87, v93, 0xb93d, -v104
	v_pk_fma_f16 v64, 0xb08eb93d, v34, v90 op_sel:[0,0,1] op_sel_hi:[1,1,0] neg_lo:[0,0,1] neg_hi:[0,0,1]
	v_add_f16_e32 v89, v84, v89
	v_add_f16_e32 v59, v59, v78
	v_mul_f16_sdwa v78, v61, v41 dst_sel:DWORD dst_unused:UNUSED_PAD src0_sel:WORD_1 src1_sel:DWORD
	v_lshrrev_b32_e32 v96, 16, v62
	v_mul_f16_e32 v84, 0x3beb, v61
	v_add_f16_e32 v41, v87, v91
	v_mul_f16_sdwa v87, v61, v101 dst_sel:DWORD dst_unused:UNUSED_PAD src0_sel:WORD_1 src1_sel:DWORD
	v_pk_add_f16 v64, v64, v92
	v_mul_f16_e32 v97, 0xb482, v61
	v_fma_f16 v92, v96, 0xb08e, -v84
	v_fma_f16 v94, v93, 0x36a6, -v88
	;; [unrolled: 1-line block ×3, first 2 shown]
	v_fmamk_f16 v91, v62, 0xb93d, v78
	v_mul_f16_e32 v110, 0x3b47, v61
	v_add_f16_e32 v92, v92, v83
	v_fmamk_f16 v83, v96, 0xbbad, v97
	v_add_f16_e32 v109, v109, v95
	v_pk_mul_f16 v95, 0x3b47ba0c, v61
	v_add_f16_e32 v67, v94, v67
	v_mul_f16_e32 v94, 0xb853, v61
	v_add_f16_e32 v111, v83, v89
	v_fma_f16 v61, v96, 0xbbad, -v97
	v_pk_fma_f16 v89, 0xb93d36a6, v62, v95 op_sel:[0,0,1] op_sel_hi:[1,1,0] neg_lo:[0,0,1] neg_hi:[0,0,1]
	v_add_f16_e32 v65, v91, v65
	v_fma_f16 v98, v96, 0x3abb, -v94
	v_fmac_f16_e32 v87, 0xbbad, v62
	v_fma_f16 v91, v96, 0x36a6, -v110
	v_mul_f16_sdwa v83, v68, v101 dst_sel:DWORD dst_unused:UNUSED_PAD src0_sel:WORD_1 src1_sel:DWORD
	v_add_f16_e32 v69, v61, v69
	v_pk_add_f16 v101, v89, v64
	v_pk_fma_f16 v61, 0x3abbbbad, v29, v86 op_sel:[0,0,1] op_sel_hi:[1,1,0]
	v_mul_f16_e32 v64, 0x3abb, v81
	v_fmamk_f16 v63, v80, 0xbbad, v63
	v_pk_mul_f16 v89, 0x36a63abb, v33
	v_add_f16_e32 v67, v98, v67
	v_add_f16_e32 v59, v87, v59
	;; [unrolled: 1-line block ×3, first 2 shown]
	v_fmamk_f16 v41, v58, 0xbbad, v83
	v_lshrrev_b32_e32 v98, 16, v58
	v_mul_f16_e32 v87, 0x3853, v68
	v_pack_b32_f16 v66, v66, v61
	v_perm_b32 v64, v0, v64, 0x5040100
	v_pack_b32_f16 v63, v63, v89
	v_perm_b32 v91, v85, v0, 0x7060302
	v_mul_f16_e32 v97, 0xba0c, v68
	v_add_f16_e32 v61, v41, v65
	v_fma_f16 v41, v98, 0x3abb, -v87
	v_pk_add_f16 v65, v66, v64
	v_pk_add_f16 v66, v63, v91
	v_pk_mul_f16 v91, 0xb08eb93d, v34
	v_mul_f16_e32 v113, 0xb93d, v93
	v_fma_f16 v64, v98, 0xb93d, -v97
	v_add_f16_e32 v63, v41, v92
	v_pk_add_f16 v41, v66, v65
	v_pack_b32_f16 v65, v104, v91
	v_bfi_b32 v66, 0xffff, v113, v90
	v_fmac_f16_e32 v19, 0x36a6, v14
	v_pk_mul_f16 v92, 0xb93d36a6, v62
	v_mul_f16_e32 v14, 0x36a6, v96
	v_add_f16_e32 v64, v64, v67
	v_mul_f16_e32 v67, 0x3b47, v68
	v_pk_add_f16 v65, v65, v66
	v_add_f16_e32 v19, v19, v100
	v_pack_b32_f16 v100, v110, v92
	v_bfi_b32 v14, 0xffff, v14, v95
	v_fmac_f16_e32 v71, 0xb08e, v22
	v_pk_add_f16 v22, v65, v41
	v_add_f16_e32 v41, v20, v105
	v_fmac_f16_e32 v24, 0xb93d, v23
	v_pk_add_f16 v14, v100, v14
	v_add_f16_e32 v65, v71, v19
	v_fma_f16 v23, v98, 0x36a6, -v67
	v_pk_mul_f16 v20, 0xbbebb482, v68
	v_mul_f16_e32 v71, 0xbbeb, v68
	v_mul_f16_e32 v100, 0xb08e, v98
	v_pk_mul_f16 v19, 0xbbadb08e, v58
	v_fmamk_f16 v66, v98, 0x36a6, v67
	v_add_f16_e32 v21, v21, v41
	v_add_f16_e32 v67, v23, v69
	v_pk_add_f16 v14, v14, v22
	v_bfi_b32 v22, 0xffff, v100, v20
	v_pack_b32_f16 v23, v71, v19
	v_add_f16_e32 v24, v24, v65
	v_fmac_f16_e32 v73, 0xbbad, v18
	v_add_f16_e32 v18, v25, v21
	v_pk_fma_f16 v21, 0xbbadb08e, v58, v20 op_sel:[0,0,1] op_sel_hi:[1,1,0] neg_lo:[0,0,1] neg_hi:[0,0,1]
	v_pk_add_f16 v22, v23, v22
	v_mul_f16_sdwa v23, v68, v15 dst_sel:DWORD dst_unused:UNUSED_PAD src0_sel:WORD_1 src1_sel:DWORD
	v_add_f16_e32 v15, v73, v24
	v_add_f16_e32 v18, v72, v18
	v_pk_add_f16 v65, v21, v101
	v_pk_add_f16 v68, v22, v14
	v_fma_f16 v14, v98, 0xb08e, -v71
	v_fma_f16 v21, v58, 0x36a6, -v23
	v_fmac_f16_e32 v23, 0x36a6, v58
	v_add_co_u32 v41, null, v53, 11
	v_add_f16_e32 v66, v66, v111
	v_pack_b32_f16 v18, v15, v18
	v_add_f16_e32 v69, v14, v112
	v_add_f16_e32 v15, v21, v109
	;; [unrolled: 1-line block ×3, first 2 shown]
	v_mul_u32_u24_e32 v59, 11, v41
	ds_write2_b32 v60, v108, v107 offset0:5 offset1:6
	ds_write2_b32 v60, v106, v99 offset1:7
	ds_write2_b32 v60, v103, v102 offset0:8 offset1:9
	ds_write_b32 v60, v18 offset:40
	s_and_saveexec_b32 s0, vcc_lo
	s_cbranch_execz .LBB0_7
; %bb.6:
	v_mul_f16_e32 v23, 0xb08e, v29
	v_mul_f16_e32 v24, 0xb08e, v80
	v_pk_add_f16 v1, v1, v0
	v_mul_f16_e32 v18, 0x3abb, v29
	v_mul_f16_e32 v21, 0x36a6, v29
	;; [unrolled: 1-line block ×6, first 2 shown]
	v_add_f16_e32 v24, v77, v24
	v_pk_mul_f16 v29, 0x3abbbbad, v29
	v_sub_f16_e32 v23, v23, v31
	v_pk_add_f16 v1, v16, v1
	v_mul_f16_e32 v22, 0x36a6, v80
	v_mul_f16_e32 v72, 0xb93d, v81
	;; [unrolled: 1-line block ×7, first 2 shown]
	v_add_f16_sdwa v24, v24, v0 dst_sel:DWORD dst_unused:UNUSED_PAD src0_sel:DWORD src1_sel:WORD_1
	v_add_f16_e32 v73, v79, v73
	v_alignbit_b32 v86, v86, v86, 16
	v_add_f16_e32 v23, v23, v0
	v_sub_f16_e32 v30, v33, v30
	v_bfi_b32 v13, 0xffff, v13, v29
	v_pk_add_f16 v1, v17, v1
	v_mul_f16_e32 v100, 0xb93d, v62
	v_mul_f16_e32 v101, 0xb08e, v62
	;; [unrolled: 1-line block ×5, first 2 shown]
	v_add_f16_e32 v24, v73, v24
	v_add_f16_e32 v31, v88, v93
	v_alignbit_b32 v73, v85, v85, 16
	v_add_f16_e32 v23, v30, v23
	v_sub_f16_e32 v30, v34, v39
	v_pk_add_f16 v13, v18, v13 neg_lo:[0,1] neg_hi:[0,1]
	v_pk_add_f16 v17, v86, v29
	v_bfi_b32 v18, 0xffff, v74, v89
	v_pk_add_f16 v1, v6, v1
	v_mul_f16_e32 v77, 0xbbad, v58
	v_mul_f16_e32 v103, 0x3abb, v58
	;; [unrolled: 1-line block ×4, first 2 shown]
	v_alignbit_b32 v85, v90, v90, 16
	v_add_f16_e32 v24, v31, v24
	v_add_f16_e32 v31, v94, v96
	;; [unrolled: 1-line block ×4, first 2 shown]
	v_sub_f16_e32 v30, v62, v38
	v_sub_f16_e32 v21, v21, v28
	v_bfi_b32 v6, 0xffff, v70, v91
	v_bfi_b32 v13, 0xffff, v13, v17
	v_pk_add_f16 v17, v25, v18 neg_lo:[0,1] neg_hi:[0,1]
	v_pk_add_f16 v18, v73, v89
	v_pk_add_f16 v1, v7, v1
	v_alignbit_b32 v33, v95, v95, 16
	v_add_f16_e32 v24, v31, v24
	v_add_f16_e32 v31, v97, v79
	v_add_f16_sdwa v22, v22, v0 dst_sel:DWORD dst_unused:UNUSED_PAD src0_sel:DWORD src1_sel:WORD_1
	v_add_f16_e32 v34, v76, v72
	v_add_f16_e32 v23, v30, v23
	v_sub_f16_e32 v28, v58, v40
	v_add_f16_e32 v21, v21, v0
	v_sub_f16_e32 v27, v71, v27
	v_pk_add_f16 v6, v80, v6 neg_lo:[0,1] neg_hi:[0,1]
	v_pk_add_f16 v7, v85, v91
	v_bfi_b32 v25, 0xffff, v78, v92
	v_bfi_b32 v17, 0xffff, v17, v18
	v_pk_add_f16 v1, v4, v1
	v_pk_add_f16 v0, v13, v0
	v_alignbit_b32 v20, v20, v20, 16
	v_add_f16_e32 v24, v31, v24
	v_add_f16_e32 v22, v34, v22
	;; [unrolled: 1-line block ×5, first 2 shown]
	v_sub_f16_e32 v23, v81, v37
	v_bfi_b32 v4, 0xffff, v6, v7
	v_pk_add_f16 v6, v100, v25 neg_lo:[0,1] neg_hi:[0,1]
	v_pk_add_f16 v7, v33, v92
	v_pk_add_f16 v1, v5, v1
	;; [unrolled: 1-line block ×3, first 2 shown]
	v_bfi_b32 v5, 0xffff, v83, v19
	v_mul_f16_e32 v104, 0x3abb, v98
	v_add_f16_e32 v22, v31, v22
	v_add_f16_e32 v30, v84, v102
	;; [unrolled: 1-line block ×3, first 2 shown]
	v_bfi_b32 v6, 0xffff, v6, v7
	v_pk_add_f16 v1, v2, v1
	v_pk_add_f16 v0, v4, v0
	v_pk_add_f16 v2, v77, v5 neg_lo:[0,1] neg_hi:[0,1]
	v_pk_add_f16 v4, v20, v19
	v_sub_f16_e32 v5, v101, v35
	v_add_f16_e32 v22, v30, v22
	v_add_f16_e32 v7, v87, v104
	v_pk_add_f16 v1, v3, v1
	v_pk_add_f16 v0, v6, v0
	v_bfi_b32 v2, 0xffff, v2, v4
	v_add_f16_e32 v3, v5, v13
	v_sub_f16_e32 v4, v103, v36
	v_lshl_add_u32 v5, v59, 2, v57
	v_pk_add_f16 v1, v26, v1
	v_pk_add_f16 v0, v2, v0
	v_add_f16_e32 v2, v7, v22
	v_add_f16_e32 v3, v4, v3
	v_alignbit_b32 v4, v69, v68, 16
	v_perm_b32 v6, v64, v11, 0x5040100
	ds_write2_b32 v5, v1, v0 offset1:1
	v_pack_b32_f16 v0, v16, v24
	v_pack_b32_f16 v1, v3, v2
	v_perm_b32 v2, v66, v15, 0x5040100
	v_perm_b32 v3, v68, v65, 0x5040100
	;; [unrolled: 1-line block ×3, first 2 shown]
	v_bfi_b32 v13, 0xffff, v61, v65
	v_perm_b32 v16, v63, v12, 0x5040100
	ds_write2_b32 v5, v1, v0 offset0:2 offset1:3
	ds_write_b32 v5, v2 offset:16
	ds_write2_b32 v5, v3, v4 offset0:5 offset1:6
	ds_write2_b32 v5, v7, v6 offset0:7 offset1:8
	;; [unrolled: 1-line block ×3, first 2 shown]
.LBB0_7:
	s_or_b32 exec_lo, exec_lo, s0
	v_add_co_u32 v13, null, v53, 22
	v_lshlrev_b32_e32 v33, 4, v53
	s_waitcnt lgkmcnt(0)
	s_barrier
	v_and_b32_e32 v4, 0xff, v13
	buffer_gl0_inv
	global_load_dwordx4 v[0:3], v33, s[2:3]
	v_lshlrev_b32_e32 v36, 3, v41
	v_lshlrev_b32_e32 v27, 3, v53
	v_mul_lo_u16 v4, 0x75, v4
	v_lshrrev_b16 v4, 8, v4
	v_sub_nc_u16 v5, v13, v4
	v_lshrrev_b16 v5, 1, v5
	v_and_b32_e32 v5, 0x7f, v5
	v_add_nc_u16 v4, v5, v4
	v_lshrrev_b16 v4, 3, v4
	v_mul_lo_u16 v4, v4, 11
	v_sub_nc_u16 v35, v13, v4
	v_lshlrev_b32_e32 v13, 3, v13
	v_lshlrev_b16 v4, 2, v35
	v_and_b32_e32 v35, 0xff, v35
	v_and_b32_e32 v4, 0xfc, v4
	v_lshl_add_u32 v62, v35, 2, v57
	v_lshlrev_b32_e32 v4, 2, v4
	global_load_dwordx4 v[4:7], v4, s[2:3]
	ds_read2_b32 v[24:25], v42 offset1:11
	ds_read2_b32 v[16:17], v42 offset0:22 offset1:33
	ds_read2_b32 v[28:29], v42 offset0:66 offset1:77
	;; [unrolled: 1-line block ×6, first 2 shown]
	ds_read_b32 v26, v42 offset:616
	s_waitcnt vmcnt(0) lgkmcnt(0)
	s_barrier
	buffer_gl0_inv
	v_add_co_u32 v33, s0, s2, v33
	v_add_co_ci_u32_e64 v34, null, s3, 0, s0
	v_sub_co_u32 v33, s0, v33, v27
	v_subrev_co_ci_u32_e64 v34, s0, 0, v34, s0
	v_lshrrev_b32_e32 v37, 16, v24
	v_lshrrev_b32_e32 v38, 16, v17
	;; [unrolled: 1-line block ×15, first 2 shown]
	s_add_u32 s0, s14, 0x294
	s_addc_u32 s1, s15, 0
	v_mul_f16_sdwa v35, v38, v0 dst_sel:DWORD dst_unused:UNUSED_PAD src0_sel:DWORD src1_sel:WORD_1
	v_mul_f16_sdwa v79, v17, v0 dst_sel:DWORD dst_unused:UNUSED_PAD src0_sel:DWORD src1_sel:WORD_1
	;; [unrolled: 1-line block ×11, first 2 shown]
	v_fma_f16 v17, v17, v0, -v35
	v_fmac_f16_e32 v79, v38, v0
	v_fma_f16 v28, v28, v1, -v80
	v_fmac_f16_e32 v81, v39, v1
	;; [unrolled: 2-line block ×3, first 2 shown]
	v_fma_f16 v30, v30, v3, -v84
	v_mul_f16_sdwa v90, v72, v2 dst_sel:DWORD dst_unused:UNUSED_PAD src0_sel:DWORD src1_sel:WORD_1
	v_fmac_f16_e32 v85, v41, v3
	v_mul_f16_sdwa v88, v71, v1 dst_sel:DWORD dst_unused:UNUSED_PAD src0_sel:DWORD src1_sel:WORD_1
	v_mul_f16_sdwa v91, v20, v2 dst_sel:DWORD dst_unused:UNUSED_PAD src0_sel:DWORD src1_sel:WORD_1
	v_fma_f16 v22, v22, v0, -v86
	v_fmac_f16_e32 v87, v70, v0
	v_fmac_f16_e32 v89, v71, v1
	v_add_f16_e32 v35, v24, v17
	v_add_f16_e32 v38, v28, v19
	v_sub_f16_e32 v41, v17, v28
	v_sub_f16_e32 v70, v30, v19
	v_add_f16_e32 v71, v17, v30
	v_add_f16_e32 v80, v37, v79
	;; [unrolled: 1-line block ×3, first 2 shown]
	v_mul_f16_sdwa v93, v31, v3 dst_sel:DWORD dst_unused:UNUSED_PAD src0_sel:DWORD src1_sel:WORD_1
	v_fma_f16 v20, v20, v2, -v90
	v_add_f16_e32 v90, v79, v85
	v_mul_f16_sdwa v92, v73, v3 dst_sel:DWORD dst_unused:UNUSED_PAD src0_sel:DWORD src1_sel:WORD_1
	v_fma_f16 v29, v29, v1, -v88
	v_fmac_f16_e32 v91, v72, v2
	v_sub_f16_e32 v39, v79, v85
	v_sub_f16_e32 v72, v28, v17
	;; [unrolled: 1-line block ×4, first 2 shown]
	v_add_f16_e32 v94, v25, v22
	v_add_f16_e32 v103, v58, v87
	;; [unrolled: 1-line block ×3, first 2 shown]
	v_fma_f16 v35, -0.5, v38, v24
	v_add_f16_e32 v38, v41, v70
	v_fma_f16 v24, -0.5, v71, v24
	v_add_f16_e32 v70, v80, v81
	v_fma_f16 v71, -0.5, v82, v37
	v_fmac_f16_e32 v93, v73, v3
	v_sub_f16_e32 v40, v81, v83
	v_fmac_f16_e32 v37, -0.5, v90
	v_fma_f16 v31, v31, v3, -v92
	v_sub_f16_e32 v73, v19, v30
	v_sub_f16_e32 v86, v79, v81
	v_sub_f16_e32 v88, v85, v83
	v_sub_f16_e32 v92, v83, v85
	v_add_f16_e32 v95, v29, v20
	v_sub_f16_e32 v98, v22, v29
	v_sub_f16_e32 v101, v29, v22
	;; [unrolled: 1-line block ×3, first 2 shown]
	v_add_f16_e32 v29, v94, v29
	v_add_f16_e32 v82, v103, v89
	;; [unrolled: 1-line block ×3, first 2 shown]
	v_fmamk_f16 v28, v39, 0x3b9c, v35
	v_add_f16_e32 v70, v70, v83
	v_fmamk_f16 v83, v17, 0xbb9c, v71
	v_sub_f16_e32 v79, v81, v79
	v_sub_f16_e32 v96, v87, v93
	;; [unrolled: 1-line block ×3, first 2 shown]
	v_add_f16_e32 v104, v89, v91
	v_sub_f16_e32 v106, v87, v89
	v_add_f16_e32 v108, v87, v93
	v_sub_f16_e32 v87, v89, v87
	v_fmamk_f16 v89, v40, 0xbb9c, v24
	v_fmac_f16_e32 v24, 0x3b9c, v40
	v_fmamk_f16 v90, v84, 0x3b9c, v37
	v_fmac_f16_e32 v37, 0xbb9c, v84
	v_fmac_f16_e32 v35, 0xbb9c, v39
	;; [unrolled: 1-line block ×3, first 2 shown]
	v_sub_f16_e32 v99, v31, v20
	v_sub_f16_e32 v102, v20, v31
	v_add_f16_e32 v41, v72, v73
	v_add_f16_e32 v72, v86, v88
	;; [unrolled: 1-line block ×4, first 2 shown]
	v_fmac_f16_e32 v28, 0x38b4, v40
	v_fmac_f16_e32 v83, 0xb8b4, v84
	v_add_f16_e32 v73, v79, v92
	v_fma_f16 v86, -0.5, v104, v58
	v_fmac_f16_e32 v58, -0.5, v108
	v_fmac_f16_e32 v89, 0x38b4, v39
	v_fmac_f16_e32 v24, 0xb8b4, v39
	;; [unrolled: 1-line block ×6, first 2 shown]
	v_add_f16_e32 v19, v19, v30
	v_add_f16_e32 v30, v70, v85
	;; [unrolled: 1-line block ×4, first 2 shown]
	v_fmac_f16_e32 v28, 0x34f2, v38
	v_fmac_f16_e32 v83, 0x34f2, v72
	v_add_f16_e32 v100, v22, v31
	v_sub_f16_e32 v22, v22, v31
	v_fmamk_f16 v94, v105, 0x3b9c, v58
	v_fmac_f16_e32 v58, 0xbb9c, v105
	v_fmac_f16_e32 v89, 0x34f2, v41
	;; [unrolled: 1-line block ×7, first 2 shown]
	v_pack_b32_f16 v19, v19, v30
	v_pack_b32_f16 v17, v17, v20
	;; [unrolled: 1-line block ×3, first 2 shown]
	v_sub_f16_e32 v107, v93, v91
	v_sub_f16_e32 v109, v91, v93
	v_fma_f16 v79, -0.5, v95, v25
	v_fmac_f16_e32 v25, -0.5, v100
	v_fmamk_f16 v91, v22, 0xbb9c, v86
	v_fmac_f16_e32 v86, 0x3b9c, v22
	v_fmac_f16_e32 v94, 0xb8b4, v22
	;; [unrolled: 1-line block ×3, first 2 shown]
	v_pack_b32_f16 v22, v89, v90
	v_pack_b32_f16 v24, v24, v37
	;; [unrolled: 1-line block ×3, first 2 shown]
	ds_write2_b32 v42, v19, v20 offset1:11
	ds_write2_b32 v42, v22, v24 offset0:22 offset1:33
	ds_write2_b32 v42, v28, v17 offset0:44 offset1:55
	v_mul_f16_sdwa v17, v75, v4 dst_sel:DWORD dst_unused:UNUSED_PAD src0_sel:DWORD src1_sel:WORD_1
	v_mul_f16_sdwa v19, v23, v4 dst_sel:DWORD dst_unused:UNUSED_PAD src0_sel:DWORD src1_sel:WORD_1
	v_mul_f16_sdwa v20, v76, v5 dst_sel:DWORD dst_unused:UNUSED_PAD src0_sel:DWORD src1_sel:WORD_1
	v_mul_f16_sdwa v22, v18, v5 dst_sel:DWORD dst_unused:UNUSED_PAD src0_sel:DWORD src1_sel:WORD_1
	v_mul_f16_sdwa v24, v77, v6 dst_sel:DWORD dst_unused:UNUSED_PAD src0_sel:DWORD src1_sel:WORD_1
	v_mul_f16_sdwa v28, v21, v6 dst_sel:DWORD dst_unused:UNUSED_PAD src0_sel:DWORD src1_sel:WORD_1
	v_mul_f16_sdwa v35, v78, v7 dst_sel:DWORD dst_unused:UNUSED_PAD src0_sel:DWORD src1_sel:WORD_1
	v_fmamk_f16 v92, v97, 0xbb9c, v25
	v_fmac_f16_e32 v25, 0x3b9c, v97
	v_mul_f16_sdwa v37, v26, v7 dst_sel:DWORD dst_unused:UNUSED_PAD src0_sel:DWORD src1_sel:WORD_1
	v_fma_f16 v17, v23, v4, -v17
	v_fmac_f16_e32 v19, v75, v4
	v_fma_f16 v18, v18, v5, -v20
	v_fmac_f16_e32 v22, v76, v5
	v_fma_f16 v20, v21, v6, -v24
	v_fmac_f16_e32 v28, v77, v6
	v_fma_f16 v21, v26, v7, -v35
	v_add_f16_e32 v81, v101, v102
	v_add_f16_e32 v87, v87, v109
	v_fmac_f16_e32 v25, 0xb8b4, v96
	v_fmac_f16_e32 v37, v78, v7
	v_add_f16_e32 v23, v16, v17
	v_add_f16_e32 v24, v18, v20
	v_sub_f16_e32 v38, v17, v18
	v_sub_f16_e32 v39, v21, v20
	v_add_f16_e32 v70, v74, v19
	v_add_f16_e32 v71, v22, v28
	v_fmac_f16_e32 v25, 0x34f2, v81
	v_fmac_f16_e32 v58, 0x34f2, v87
	v_add_f16_e32 v40, v17, v21
	v_add_f16_e32 v76, v19, v37
	v_sub_f16_e32 v26, v19, v37
	v_sub_f16_e32 v35, v22, v28
	;; [unrolled: 1-line block ×7, first 2 shown]
	v_add_f16_e32 v18, v23, v18
	v_fma_f16 v23, -0.5, v24, v16
	v_add_f16_e32 v24, v38, v39
	v_add_f16_e32 v22, v70, v22
	v_fma_f16 v39, -0.5, v71, v74
	v_pack_b32_f16 v25, v25, v58
	v_sub_f16_e32 v58, v20, v21
	v_fmac_f16_e32 v16, -0.5, v40
	v_fmac_f16_e32 v74, -0.5, v76
	v_fmamk_f16 v29, v96, 0x3b9c, v79
	v_fmac_f16_e32 v79, 0xbb9c, v96
	v_sub_f16_e32 v75, v37, v28
	v_sub_f16_e32 v77, v28, v37
	v_add_f16_e32 v18, v18, v20
	v_fmamk_f16 v20, v26, 0x3b9c, v23
	v_add_f16_e32 v22, v22, v28
	v_fmamk_f16 v28, v17, 0xbb9c, v39
	;; [unrolled: 2-line block ×3, first 2 shown]
	v_fmac_f16_e32 v16, 0x3b9c, v35
	v_fmamk_f16 v58, v72, 0x3b9c, v74
	v_fmac_f16_e32 v74, 0xbb9c, v72
	v_fmac_f16_e32 v23, 0xbb9c, v26
	;; [unrolled: 1-line block ×3, first 2 shown]
	v_add_f16_e32 v80, v98, v99
	v_add_f16_e32 v88, v106, v107
	v_fmac_f16_e32 v29, 0x38b4, v97
	v_fmac_f16_e32 v92, 0x38b4, v96
	;; [unrolled: 1-line block ×5, first 2 shown]
	v_add_f16_e32 v40, v73, v75
	v_fmac_f16_e32 v20, 0x38b4, v35
	v_fmac_f16_e32 v28, 0xb8b4, v72
	v_add_f16_e32 v19, v19, v77
	v_fmac_f16_e32 v41, 0x38b4, v26
	v_fmac_f16_e32 v16, 0xb8b4, v26
	;; [unrolled: 1-line block ×12, first 2 shown]
	v_add_f16_e32 v18, v18, v21
	v_add_f16_e32 v21, v22, v37
	v_fmac_f16_e32 v20, 0x34f2, v24
	v_fmac_f16_e32 v28, 0x34f2, v40
	;; [unrolled: 1-line block ×8, first 2 shown]
	v_pack_b32_f16 v29, v29, v91
	v_pack_b32_f16 v30, v92, v94
	;; [unrolled: 1-line block ×8, first 2 shown]
	ds_write2_b32 v42, v29, v30 offset0:66 offset1:77
	ds_write2_b32 v42, v25, v31 offset0:88 offset1:99
	;; [unrolled: 1-line block ×4, first 2 shown]
	ds_write_b32 v62, v20 offset:616
	s_waitcnt lgkmcnt(0)
	s_barrier
	buffer_gl0_inv
	s_clause 0x2
	global_load_dwordx2 v[25:26], v[33:34], off offset:176
	global_load_dwordx2 v[23:24], v36, s[2:3] offset:176
	global_load_dwordx2 v[21:22], v13, s[2:3] offset:176
	v_add_nc_u32_e32 v16, 0x108, v27
	v_add_nc_u32_e32 v13, 0x160, v27
	s_clause 0x1
	global_load_dwordx2 v[19:20], v16, s[2:3] offset:176
	global_load_dwordx2 v[17:18], v13, s[2:3] offset:176
	ds_read2_b32 v[33:34], v42 offset1:11
	ds_read2_b32 v[29:30], v42 offset0:44 offset1:55
	ds_read2_b32 v[35:36], v42 offset0:110 offset1:121
	ds_read2_b32 v[37:38], v42 offset0:66 offset1:77
	ds_read2_b32 v[27:28], v42 offset0:22 offset1:33
	ds_read2_b32 v[39:40], v42 offset0:132 offset1:143
	ds_read2_b32 v[73:74], v42 offset0:88 offset1:99
	ds_read_b32 v13, v42 offset:616
	v_lshl_add_u32 v58, v53, 2, v57
	s_waitcnt lgkmcnt(7)
	v_lshrrev_b32_e32 v16, 16, v33
	s_waitcnt lgkmcnt(6)
	v_lshrrev_b32_e32 v31, 16, v30
	;; [unrolled: 2-line block ×4, first 2 shown]
	v_lshrrev_b32_e32 v76, 16, v36
	v_lshrrev_b32_e32 v78, 16, v38
	s_waitcnt lgkmcnt(2)
	v_lshrrev_b32_e32 v79, 16, v39
	s_waitcnt lgkmcnt(1)
	v_lshrrev_b32_e32 v80, 16, v73
	v_lshrrev_b32_e32 v81, 16, v40
	;; [unrolled: 1-line block ×3, first 2 shown]
	s_waitcnt lgkmcnt(0)
	v_lshrrev_b32_e32 v83, 16, v13
	v_lshrrev_b32_e32 v70, 16, v34
	;; [unrolled: 1-line block ×5, first 2 shown]
	s_waitcnt vmcnt(4)
	v_mul_f16_sdwa v84, v31, v25 dst_sel:DWORD dst_unused:UNUSED_PAD src0_sel:DWORD src1_sel:WORD_1
	v_mul_f16_sdwa v85, v30, v25 dst_sel:DWORD dst_unused:UNUSED_PAD src0_sel:DWORD src1_sel:WORD_1
	v_mul_f16_sdwa v86, v41, v26 dst_sel:DWORD dst_unused:UNUSED_PAD src0_sel:DWORD src1_sel:WORD_1
	v_mul_f16_sdwa v87, v35, v26 dst_sel:DWORD dst_unused:UNUSED_PAD src0_sel:DWORD src1_sel:WORD_1
	s_waitcnt vmcnt(3)
	v_mul_f16_sdwa v88, v75, v23 dst_sel:DWORD dst_unused:UNUSED_PAD src0_sel:DWORD src1_sel:WORD_1
	v_mul_f16_sdwa v89, v37, v23 dst_sel:DWORD dst_unused:UNUSED_PAD src0_sel:DWORD src1_sel:WORD_1
	v_mul_f16_sdwa v90, v76, v24 dst_sel:DWORD dst_unused:UNUSED_PAD src0_sel:DWORD src1_sel:WORD_1
	v_mul_f16_sdwa v91, v36, v24 dst_sel:DWORD dst_unused:UNUSED_PAD src0_sel:DWORD src1_sel:WORD_1
	;; [unrolled: 5-line block ×5, first 2 shown]
	v_fma_f16 v30, v30, v25, -v84
	v_fmac_f16_e32 v85, v31, v25
	v_fma_f16 v31, v35, v26, -v86
	v_fmac_f16_e32 v87, v41, v26
	;; [unrolled: 2-line block ×10, first 2 shown]
	v_add_f16_e32 v74, v30, v31
	v_add_f16_e32 v78, v85, v87
	;; [unrolled: 1-line block ×4, first 2 shown]
	v_sub_f16_e32 v75, v85, v87
	v_add_f16_e32 v76, v16, v85
	v_add_f16_e32 v79, v34, v35
	v_sub_f16_e32 v81, v89, v91
	v_add_f16_e32 v82, v70, v89
	v_add_f16_e32 v85, v37, v38
	;; [unrolled: 1-line block ×4, first 2 shown]
	v_sub_f16_e32 v30, v30, v31
	v_sub_f16_e32 v35, v35, v36
	v_add_f16_e32 v84, v27, v37
	v_sub_f16_e32 v86, v93, v95
	v_add_f16_e32 v88, v77, v93
	v_add_f16_e32 v92, v39, v40
	v_sub_f16_e32 v93, v97, v99
	v_add_f16_e32 v94, v71, v97
	v_add_f16_e32 v96, v97, v99
	;; [unrolled: 1-line block ×4, first 2 shown]
	v_sub_f16_e32 v100, v101, v103
	v_add_f16_e32 v102, v72, v101
	v_add_f16_e32 v101, v101, v103
	v_fma_f16 v33, -0.5, v74, v33
	v_fmac_f16_e32 v16, -0.5, v78
	v_fmac_f16_e32 v34, -0.5, v80
	;; [unrolled: 1-line block ×3, first 2 shown]
	v_sub_f16_e32 v37, v37, v38
	v_add_f16_e32 v36, v79, v36
	v_fma_f16 v79, -0.5, v85, v27
	v_fmac_f16_e32 v77, -0.5, v89
	v_add_f16_e32 v90, v28, v39
	v_sub_f16_e32 v39, v39, v40
	v_sub_f16_e32 v41, v41, v13
	v_add_f16_e32 v104, v73, v31
	v_add_f16_e32 v76, v76, v87
	;; [unrolled: 1-line block ×5, first 2 shown]
	v_fmac_f16_e32 v28, -0.5, v92
	v_fmac_f16_e32 v71, -0.5, v96
	v_add_f16_e32 v31, v97, v13
	v_fmac_f16_e32 v29, -0.5, v98
	v_fmac_f16_e32 v72, -0.5, v101
	v_fmamk_f16 v13, v75, 0x3aee, v33
	v_fmac_f16_e32 v33, 0xbaee, v75
	v_fmamk_f16 v75, v30, 0xbaee, v16
	v_fmac_f16_e32 v16, 0x3aee, v30
	;; [unrolled: 2-line block ×4, first 2 shown]
	v_fmamk_f16 v35, v86, 0x3aee, v79
	v_fmamk_f16 v83, v37, 0xbaee, v77
	v_fmac_f16_e32 v79, 0xbaee, v86
	v_fmac_f16_e32 v77, 0x3aee, v37
	v_add_f16_e32 v40, v90, v40
	v_add_f16_e32 v82, v94, v99
	;; [unrolled: 1-line block ×3, first 2 shown]
	v_fmamk_f16 v37, v93, 0x3aee, v28
	v_fmac_f16_e32 v28, 0xbaee, v93
	v_fmamk_f16 v84, v39, 0xbaee, v71
	v_fmac_f16_e32 v71, 0x3aee, v39
	;; [unrolled: 2-line block ×4, first 2 shown]
	v_pack_b32_f16 v39, v104, v76
	v_pack_b32_f16 v36, v36, v78
	v_pack_b32_f16 v38, v38, v80
	v_pack_b32_f16 v13, v13, v75
	v_pack_b32_f16 v30, v30, v81
	v_pack_b32_f16 v16, v33, v16
	v_pack_b32_f16 v33, v34, v70
	v_pack_b32_f16 v34, v35, v83
	v_pack_b32_f16 v35, v79, v77
	v_pack_b32_f16 v40, v40, v82
	v_pack_b32_f16 v41, v31, v73
	ds_write_b32 v42, v39
	ds_write2_b32 v58, v36, v38 offset0:11 offset1:22
	v_pack_b32_f16 v36, v37, v84
	v_pack_b32_f16 v37, v28, v71
	;; [unrolled: 1-line block ×4, first 2 shown]
	ds_write2_b32 v58, v13, v30 offset0:55 offset1:66
	ds_write2_b32 v58, v16, v33 offset0:110 offset1:121
	ds_write_b32 v42, v34 offset:308
	ds_write_b32 v42, v35 offset:528
	;; [unrolled: 1-line block ×8, first 2 shown]
	s_waitcnt lgkmcnt(0)
	s_barrier
	buffer_gl0_inv
	s_clause 0xa
	global_load_dword v13, v[8:9], off offset:660
	global_load_dword v16, v32, s[0:1] offset:60
	global_load_dword v30, v32, s[0:1] offset:120
	global_load_dword v41, v32, s[0:1] offset:180
	global_load_dword v70, v32, s[0:1] offset:240
	global_load_dword v77, v32, s[0:1] offset:300
	global_load_dword v78, v32, s[0:1] offset:360
	global_load_dword v79, v32, s[0:1] offset:420
	global_load_dword v80, v32, s[0:1] offset:480
	global_load_dword v81, v32, s[0:1] offset:540
	global_load_dword v82, v32, s[0:1] offset:600
	ds_read2_b32 v[33:34], v42 offset1:15
	ds_read2_b32 v[35:36], v42 offset0:30 offset1:45
	ds_read2_b32 v[37:38], v42 offset0:60 offset1:75
	;; [unrolled: 1-line block ×4, first 2 shown]
	ds_read_b32 v83, v42 offset:600
	s_waitcnt lgkmcnt(5)
	v_lshrrev_b32_e32 v84, 16, v33
	v_lshrrev_b32_e32 v85, 16, v34
	s_waitcnt lgkmcnt(4)
	v_lshrrev_b32_e32 v86, 16, v35
	v_lshrrev_b32_e32 v87, 16, v36
	;; [unrolled: 3-line block ×5, first 2 shown]
	s_waitcnt lgkmcnt(0)
	v_lshrrev_b32_e32 v94, 16, v83
	s_waitcnt vmcnt(10)
	v_mul_f16_sdwa v95, v84, v13 dst_sel:DWORD dst_unused:UNUSED_PAD src0_sel:DWORD src1_sel:WORD_1
	v_mul_f16_sdwa v96, v33, v13 dst_sel:DWORD dst_unused:UNUSED_PAD src0_sel:DWORD src1_sel:WORD_1
	s_waitcnt vmcnt(9)
	v_mul_f16_sdwa v97, v85, v16 dst_sel:DWORD dst_unused:UNUSED_PAD src0_sel:DWORD src1_sel:WORD_1
	v_mul_f16_sdwa v98, v34, v16 dst_sel:DWORD dst_unused:UNUSED_PAD src0_sel:DWORD src1_sel:WORD_1
	s_waitcnt vmcnt(8)
	v_mul_f16_sdwa v99, v86, v30 dst_sel:DWORD dst_unused:UNUSED_PAD src0_sel:DWORD src1_sel:WORD_1
	v_mul_f16_sdwa v100, v35, v30 dst_sel:DWORD dst_unused:UNUSED_PAD src0_sel:DWORD src1_sel:WORD_1
	s_waitcnt vmcnt(7)
	v_mul_f16_sdwa v101, v87, v41 dst_sel:DWORD dst_unused:UNUSED_PAD src0_sel:DWORD src1_sel:WORD_1
	v_mul_f16_sdwa v102, v36, v41 dst_sel:DWORD dst_unused:UNUSED_PAD src0_sel:DWORD src1_sel:WORD_1
	s_waitcnt vmcnt(6)
	v_mul_f16_sdwa v103, v88, v70 dst_sel:DWORD dst_unused:UNUSED_PAD src0_sel:DWORD src1_sel:WORD_1
	v_mul_f16_sdwa v104, v37, v70 dst_sel:DWORD dst_unused:UNUSED_PAD src0_sel:DWORD src1_sel:WORD_1
	s_waitcnt vmcnt(5)
	v_mul_f16_sdwa v105, v89, v77 dst_sel:DWORD dst_unused:UNUSED_PAD src0_sel:DWORD src1_sel:WORD_1
	v_mul_f16_sdwa v106, v38, v77 dst_sel:DWORD dst_unused:UNUSED_PAD src0_sel:DWORD src1_sel:WORD_1
	s_waitcnt vmcnt(4)
	v_mul_f16_sdwa v107, v90, v78 dst_sel:DWORD dst_unused:UNUSED_PAD src0_sel:DWORD src1_sel:WORD_1
	v_mul_f16_sdwa v108, v39, v78 dst_sel:DWORD dst_unused:UNUSED_PAD src0_sel:DWORD src1_sel:WORD_1
	s_waitcnt vmcnt(3)
	v_mul_f16_sdwa v109, v91, v79 dst_sel:DWORD dst_unused:UNUSED_PAD src0_sel:DWORD src1_sel:WORD_1
	v_mul_f16_sdwa v110, v40, v79 dst_sel:DWORD dst_unused:UNUSED_PAD src0_sel:DWORD src1_sel:WORD_1
	s_waitcnt vmcnt(2)
	v_mul_f16_sdwa v111, v92, v80 dst_sel:DWORD dst_unused:UNUSED_PAD src0_sel:DWORD src1_sel:WORD_1
	v_mul_f16_sdwa v112, v75, v80 dst_sel:DWORD dst_unused:UNUSED_PAD src0_sel:DWORD src1_sel:WORD_1
	s_waitcnt vmcnt(1)
	v_mul_f16_sdwa v113, v93, v81 dst_sel:DWORD dst_unused:UNUSED_PAD src0_sel:DWORD src1_sel:WORD_1
	v_mul_f16_sdwa v114, v76, v81 dst_sel:DWORD dst_unused:UNUSED_PAD src0_sel:DWORD src1_sel:WORD_1
	s_waitcnt vmcnt(0)
	v_mul_f16_sdwa v115, v94, v82 dst_sel:DWORD dst_unused:UNUSED_PAD src0_sel:DWORD src1_sel:WORD_1
	v_mul_f16_sdwa v116, v83, v82 dst_sel:DWORD dst_unused:UNUSED_PAD src0_sel:DWORD src1_sel:WORD_1
	v_fma_f16 v33, v33, v13, -v95
	v_fmac_f16_e32 v96, v84, v13
	v_fma_f16 v13, v34, v16, -v97
	v_fmac_f16_e32 v98, v85, v16
	;; [unrolled: 2-line block ×11, first 2 shown]
	v_pack_b32_f16 v33, v33, v96
	v_pack_b32_f16 v13, v13, v98
	v_pack_b32_f16 v16, v16, v100
	v_pack_b32_f16 v30, v30, v102
	v_pack_b32_f16 v34, v34, v104
	v_pack_b32_f16 v35, v35, v106
	v_pack_b32_f16 v36, v36, v108
	v_pack_b32_f16 v37, v37, v110
	v_pack_b32_f16 v38, v38, v112
	v_pack_b32_f16 v39, v39, v114
	v_pack_b32_f16 v40, v40, v116
	ds_write2_b32 v42, v33, v13 offset1:15
	ds_write2_b32 v42, v16, v30 offset0:30 offset1:45
	ds_write2_b32 v42, v34, v35 offset0:60 offset1:75
	;; [unrolled: 1-line block ×4, first 2 shown]
	ds_write_b32 v42, v40 offset:600
	s_and_saveexec_b32 s2, vcc_lo
	s_cbranch_execz .LBB0_9
; %bb.8:
	v_add_co_u32 v32, s0, s0, v32
	v_add_co_ci_u32_e64 v33, null, s1, 0, s0
	s_clause 0xa
	global_load_dword v13, v[32:33], off offset:44
	global_load_dword v16, v[32:33], off offset:104
	;; [unrolled: 1-line block ×11, first 2 shown]
	ds_read2_b32 v[32:33], v58 offset0:11 offset1:26
	ds_read2_b32 v[34:35], v58 offset0:41 offset1:56
	;; [unrolled: 1-line block ×5, first 2 shown]
	ds_read_b32 v82, v58 offset:644
	s_waitcnt lgkmcnt(5)
	v_lshrrev_b32_e32 v83, 16, v32
	v_lshrrev_b32_e32 v84, 16, v33
	s_waitcnt lgkmcnt(4)
	v_lshrrev_b32_e32 v85, 16, v34
	v_lshrrev_b32_e32 v86, 16, v35
	;; [unrolled: 3-line block ×5, first 2 shown]
	s_waitcnt lgkmcnt(0)
	v_lshrrev_b32_e32 v93, 16, v82
	s_waitcnt vmcnt(10)
	v_mul_f16_sdwa v94, v83, v13 dst_sel:DWORD dst_unused:UNUSED_PAD src0_sel:DWORD src1_sel:WORD_1
	v_mul_f16_sdwa v95, v32, v13 dst_sel:DWORD dst_unused:UNUSED_PAD src0_sel:DWORD src1_sel:WORD_1
	s_waitcnt vmcnt(9)
	v_mul_f16_sdwa v96, v84, v16 dst_sel:DWORD dst_unused:UNUSED_PAD src0_sel:DWORD src1_sel:WORD_1
	v_mul_f16_sdwa v97, v33, v16 dst_sel:DWORD dst_unused:UNUSED_PAD src0_sel:DWORD src1_sel:WORD_1
	;; [unrolled: 3-line block ×11, first 2 shown]
	v_fma_f16 v32, v32, v13, -v94
	v_fmac_f16_e32 v95, v83, v13
	v_fma_f16 v13, v33, v16, -v96
	v_fmac_f16_e32 v97, v84, v16
	;; [unrolled: 2-line block ×11, first 2 shown]
	v_pack_b32_f16 v32, v32, v95
	v_pack_b32_f16 v13, v13, v97
	;; [unrolled: 1-line block ×11, first 2 shown]
	ds_write2_b32 v58, v32, v13 offset0:11 offset1:26
	ds_write2_b32 v58, v16, v30 offset0:41 offset1:56
	;; [unrolled: 1-line block ×5, first 2 shown]
	ds_write_b32 v58, v39 offset:644
.LBB0_9:
	s_or_b32 exec_lo, exec_lo, s2
	s_waitcnt lgkmcnt(0)
	s_barrier
	buffer_gl0_inv
	ds_read2_b32 v[32:33], v42 offset1:15
	ds_read2_b32 v[38:39], v42 offset0:30 offset1:45
	ds_read2_b32 v[34:35], v42 offset0:60 offset1:75
	;; [unrolled: 1-line block ×4, first 2 shown]
	ds_read_b32 v75, v42 offset:600
	v_lshrrev_b32_e32 v13, 16, v68
	s_and_saveexec_b32 s0, vcc_lo
	s_cbranch_execz .LBB0_11
; %bb.10:
	ds_read2_b32 v[30:31], v58 offset0:11 offset1:26
	ds_read2_b32 v[27:28], v58 offset0:41 offset1:56
	;; [unrolled: 1-line block ×5, first 2 shown]
	ds_read_b32 v61, v58 offset:644
	s_waitcnt lgkmcnt(5)
	v_lshrrev_b32_e32 v71, 16, v30
	v_lshrrev_b32_e32 v73, 16, v31
	s_waitcnt lgkmcnt(4)
	v_lshrrev_b32_e32 v74, 16, v27
	v_lshrrev_b32_e32 v72, 16, v28
	;; [unrolled: 3-line block ×5, first 2 shown]
	s_waitcnt lgkmcnt(0)
	v_bfi_b32 v65, 0xffff, v16, v61
	v_mov_b32_e32 v29, v28
	v_mov_b32_e32 v28, v30
.LBB0_11:
	s_or_b32 exec_lo, exec_lo, s0
	s_waitcnt lgkmcnt(5)
	v_pk_add_f16 v76, v32, v33
	s_waitcnt lgkmcnt(0)
	v_pk_add_f16 v77, v75, v33
	v_pk_add_f16 v33, v33, v75 neg_lo:[0,1] neg_hi:[0,1]
	v_mov_b32_e32 v78, 0xbb47
	v_mov_b32_e32 v82, 0xba0c
	v_pk_add_f16 v76, v76, v38
	v_mov_b32_e32 v79, 0x36a6
	v_pk_mul_f16 v84, 0xb853, v33 op_sel_hi:[0,1]
	v_mul_f16_sdwa v78, v33, v78 dst_sel:DWORD dst_unused:UNUSED_PAD src0_sel:WORD_1 src1_sel:DWORD
	v_mov_b32_e32 v80, 0xbbeb
	v_pk_add_f16 v76, v76, v39
	v_mov_b32_e32 v81, 0xb08e
	v_pk_fma_f16 v87, 0x3abb, v77, v84 op_sel:[0,0,1] op_sel_hi:[0,1,0]
	v_pk_fma_f16 v84, 0x3abb, v77, v84 op_sel:[0,0,1] op_sel_hi:[0,1,0] neg_lo:[0,0,1] neg_hi:[0,0,1]
	v_fmamk_f16 v88, v77, 0x36a6, v78
	v_pk_add_f16 v76, v76, v34
	v_mov_b32_e32 v83, 0xb93d
	v_mul_f16_sdwa v85, v77, v79 dst_sel:DWORD dst_unused:UNUSED_PAD src0_sel:WORD_1 src1_sel:DWORD
	v_bfi_b32 v92, 0xffff, v87, v84
	v_mul_f16_sdwa v80, v33, v80 dst_sel:DWORD dst_unused:UNUSED_PAD src0_sel:WORD_1 src1_sel:DWORD
	v_pk_add_f16 v76, v76, v35
	v_fma_f16 v78, v77, 0x36a6, -v78
	v_add_f16_e32 v88, v32, v88
	v_pk_add_f16 v92, v32, v92
	v_mov_b32_e32 v101, 0x3482
	v_pk_add_f16 v76, v76, v36
	v_mul_f16_sdwa v86, v77, v81 dst_sel:DWORD dst_unused:UNUSED_PAD src0_sel:WORD_1 src1_sel:DWORD
	v_fmamk_f16 v89, v33, 0x3b47, v85
	v_fmamk_f16 v90, v77, 0xb08e, v80
	v_fma_f16 v80, v77, 0xb08e, -v80
	v_pk_add_f16 v76, v76, v37
	v_add_f16_e32 v78, v32, v78
	v_mov_b32_e32 v102, 0xbbad
	v_fmac_f16_e32 v85, 0xbb47, v33
	v_fmamk_f16 v91, v33, 0x3beb, v86
	v_pk_add_f16 v76, v76, v40
	v_add_f16_sdwa v89, v32, v89 dst_sel:DWORD dst_unused:UNUSED_PAD src0_sel:WORD_1 src1_sel:DWORD
	v_add_f16_e32 v90, v32, v90
	v_mul_f16_sdwa v93, v33, v82 dst_sel:DWORD dst_unused:UNUSED_PAD src0_sel:WORD_1 src1_sel:DWORD
	v_add_f16_e32 v80, v32, v80
	v_pk_add_f16 v76, v76, v41
	v_mov_b32_e32 v105, 0x3beb
	v_add_f16_sdwa v85, v32, v85 dst_sel:DWORD dst_unused:UNUSED_PAD src0_sel:WORD_1 src1_sel:DWORD
	v_add_f16_sdwa v91, v32, v91 dst_sel:DWORD dst_unused:UNUSED_PAD src0_sel:WORD_1 src1_sel:DWORD
	v_fmac_f16_e32 v86, 0xbbeb, v33
	v_pk_add_f16 v75, v76, v75
	v_pk_add_f16 v76, v38, v41 neg_lo:[0,1] neg_hi:[0,1]
	v_pk_add_f16 v38, v41, v38
	v_mul_f16_sdwa v94, v77, v83 dst_sel:DWORD dst_unused:UNUSED_PAD src0_sel:WORD_1 src1_sel:DWORD
	v_fmamk_f16 v95, v77, 0xb93d, v93
	v_add_f16_sdwa v86, v32, v86 dst_sel:DWORD dst_unused:UNUSED_PAD src0_sel:WORD_1 src1_sel:DWORD
	v_pk_mul_f16 v41, 0xbb47, v76 op_sel_hi:[0,1]
	v_mul_f16_sdwa v99, v76, v82 dst_sel:DWORD dst_unused:UNUSED_PAD src0_sel:WORD_1 src1_sel:DWORD
	v_mul_f16_sdwa v100, v38, v83 dst_sel:DWORD dst_unused:UNUSED_PAD src0_sel:WORD_1 src1_sel:DWORD
	;; [unrolled: 1-line block ×3, first 2 shown]
	v_fmamk_f16 v96, v33, 0x3a0c, v94
	v_pk_fma_f16 v97, 0x36a6, v38, v41 op_sel:[0,0,1] op_sel_hi:[0,1,0]
	v_pk_fma_f16 v41, 0x36a6, v38, v41 op_sel:[0,0,1] op_sel_hi:[0,1,0] neg_lo:[0,0,1] neg_hi:[0,0,1]
	v_fmamk_f16 v103, v76, 0x3a0c, v100
	v_fmac_f16_e32 v100, 0xba0c, v76
	v_add_f16_e32 v95, v32, v95
	v_fma_f16 v93, v77, 0xb93d, -v93
	v_bfi_b32 v98, 0xffff, v97, v41
	v_add_f16_e32 v89, v103, v89
	v_fmamk_f16 v103, v76, 0xb482, v104
	v_fmac_f16_e32 v94, 0xba0c, v33
	v_add_f16_e32 v85, v100, v85
	v_pk_add_f16 v92, v98, v92
	v_fmamk_f16 v98, v38, 0xb93d, v99
	v_fma_f16 v99, v38, 0xb93d, -v99
	v_add_f16_e32 v91, v103, v91
	v_fmac_f16_e32 v104, 0x3482, v76
	v_mul_f16_sdwa v100, v38, v81 dst_sel:DWORD dst_unused:UNUSED_PAD src0_sel:WORD_1 src1_sel:DWORD
	v_add_f16_e32 v88, v98, v88
	v_mul_f16_sdwa v98, v76, v101 dst_sel:DWORD dst_unused:UNUSED_PAD src0_sel:WORD_1 src1_sel:DWORD
	v_add_f16_e32 v78, v99, v78
	v_add_f16_sdwa v96, v32, v96 dst_sel:DWORD dst_unused:UNUSED_PAD src0_sel:WORD_1 src1_sel:DWORD
	v_add_f16_e32 v93, v32, v93
	v_add_f16_sdwa v94, v32, v94 dst_sel:DWORD dst_unused:UNUSED_PAD src0_sel:WORD_1 src1_sel:DWORD
	v_fmamk_f16 v99, v38, 0xbbad, v98
	v_fma_f16 v98, v38, 0xbbad, -v98
	v_add_f16_e32 v86, v104, v86
	v_fmamk_f16 v104, v76, 0xbbeb, v100
	v_fmac_f16_e32 v100, 0x3beb, v76
	v_add_f16_e32 v90, v99, v90
	v_mul_f16_sdwa v99, v76, v105 dst_sel:DWORD dst_unused:UNUSED_PAD src0_sel:WORD_1 src1_sel:DWORD
	v_add_f16_e32 v80, v98, v80
	v_pk_add_f16 v98, v39, v40 neg_lo:[0,1] neg_hi:[0,1]
	v_pk_add_f16 v39, v40, v39
	v_add_f16_e32 v96, v104, v96
	v_fmamk_f16 v103, v38, 0xb08e, v99
	v_fma_f16 v99, v38, 0xb08e, -v99
	v_pk_mul_f16 v40, 0xbbeb, v98 op_sel_hi:[0,1]
	v_mul_f16_sdwa v101, v98, v101 dst_sel:DWORD dst_unused:UNUSED_PAD src0_sel:WORD_1 src1_sel:DWORD
	v_mul_f16_sdwa v104, v39, v102 dst_sel:DWORD dst_unused:UNUSED_PAD src0_sel:WORD_1 src1_sel:DWORD
	v_add_f16_e32 v95, v103, v95
	v_add_f16_e32 v93, v99, v93
	v_pk_fma_f16 v103, 0xb08e, v39, v40 op_sel:[0,0,1] op_sel_hi:[0,1,0]
	v_pk_fma_f16 v40, 0xb08e, v39, v40 op_sel:[0,0,1] op_sel_hi:[0,1,0] neg_lo:[0,0,1] neg_hi:[0,0,1]
	v_add_f16_e32 v94, v100, v94
	v_fmamk_f16 v100, v39, 0xbbad, v101
	v_mov_b32_e32 v106, 0x3b47
	v_fma_f16 v101, v39, 0xbbad, -v101
	v_bfi_b32 v99, 0xffff, v103, v40
	v_mul_f16_sdwa v107, v39, v79 dst_sel:DWORD dst_unused:UNUSED_PAD src0_sel:WORD_1 src1_sel:DWORD
	v_add_f16_e32 v88, v100, v88
	v_mul_f16_sdwa v100, v98, v106 dst_sel:DWORD dst_unused:UNUSED_PAD src0_sel:WORD_1 src1_sel:DWORD
	v_add_f16_e32 v78, v101, v78
	v_pk_add_f16 v92, v99, v92
	v_fmamk_f16 v99, v98, 0xb482, v104
	v_fmac_f16_e32 v104, 0x3482, v98
	v_fmamk_f16 v101, v98, 0xbb47, v107
	v_mov_b32_e32 v108, 0xb853
	v_mov_b32_e32 v109, 0x3abb
	v_add_f16_e32 v89, v99, v89
	v_fmamk_f16 v99, v39, 0x36a6, v100
	v_add_f16_e32 v85, v104, v85
	v_add_f16_e32 v91, v101, v91
	v_mul_f16_sdwa v101, v39, v109 dst_sel:DWORD dst_unused:UNUSED_PAD src0_sel:WORD_1 src1_sel:DWORD
	v_pk_add_f16 v104, v34, v37 neg_lo:[0,1] neg_hi:[0,1]
	v_add_f16_e32 v90, v99, v90
	v_mul_f16_sdwa v99, v98, v108 dst_sel:DWORD dst_unused:UNUSED_PAD src0_sel:WORD_1 src1_sel:DWORD
	v_pk_add_f16 v34, v37, v34
	v_fma_f16 v100, v39, 0x36a6, -v100
	v_fmamk_f16 v111, v98, 0x3853, v101
	v_pk_mul_f16 v37, 0xba0c, v104 op_sel_hi:[0,1]
	v_fmamk_f16 v110, v39, 0x3abb, v99
	v_fma_f16 v99, v39, 0x3abb, -v99
	v_mul_f16_sdwa v105, v104, v105 dst_sel:DWORD dst_unused:UNUSED_PAD src0_sel:WORD_1 src1_sel:DWORD
	v_fmac_f16_e32 v101, 0xb853, v98
	v_mul_f16_sdwa v81, v34, v81 dst_sel:DWORD dst_unused:UNUSED_PAD src0_sel:WORD_1 src1_sel:DWORD
	v_fmac_f16_e32 v107, 0x3b47, v98
	v_add_f16_e32 v80, v100, v80
	v_pk_fma_f16 v100, 0xb93d, v34, v37 op_sel:[0,0,1] op_sel_hi:[0,1,0]
	v_pk_fma_f16 v37, 0xb93d, v34, v37 op_sel:[0,0,1] op_sel_hi:[0,1,0] neg_lo:[0,0,1] neg_hi:[0,0,1]
	v_add_f16_e32 v93, v99, v93
	v_fmamk_f16 v99, v34, 0xb08e, v105
	v_add_f16_e32 v94, v101, v94
	v_fmamk_f16 v101, v104, 0xbbeb, v81
	v_add_f16_e32 v86, v107, v86
	v_bfi_b32 v107, 0xffff, v100, v37
	v_fma_f16 v105, v34, 0xb08e, -v105
	v_add_f16_e32 v88, v99, v88
	v_mul_f16_sdwa v99, v104, v108 dst_sel:DWORD dst_unused:UNUSED_PAD src0_sel:WORD_1 src1_sel:DWORD
	v_add_f16_e32 v89, v101, v89
	v_mul_f16_sdwa v101, v34, v109 dst_sel:DWORD dst_unused:UNUSED_PAD src0_sel:WORD_1 src1_sel:DWORD
	v_pk_add_f16 v92, v107, v92
	v_add_f16_e32 v78, v105, v78
	v_fmac_f16_e32 v81, 0x3beb, v104
	v_fmamk_f16 v105, v34, 0x3abb, v99
	v_mov_b32_e32 v107, 0xb482
	v_fmamk_f16 v108, v104, 0x3853, v101
	v_fma_f16 v99, v34, 0x3abb, -v99
	v_fmac_f16_e32 v101, 0xb853, v104
	v_add_f16_e32 v81, v81, v85
	v_add_f16_e32 v85, v105, v90
	v_mul_f16_sdwa v90, v104, v107 dst_sel:DWORD dst_unused:UNUSED_PAD src0_sel:WORD_1 src1_sel:DWORD
	v_add_f16_e32 v80, v99, v80
	v_pk_add_f16 v99, v35, v36 neg_lo:[0,1] neg_hi:[0,1]
	v_add_f16_e32 v86, v101, v86
	v_mov_b32_e32 v101, 0x3853
	v_fmamk_f16 v105, v34, 0xbbad, v90
	v_pk_add_f16 v35, v36, v35
	v_fma_f16 v90, v34, 0xbbad, -v90
	v_add_f16_e32 v95, v110, v95
	v_mul_f16_sdwa v101, v99, v101 dst_sel:DWORD dst_unused:UNUSED_PAD src0_sel:WORD_1 src1_sel:DWORD
	v_add_f16_e32 v91, v108, v91
	v_mul_f16_sdwa v102, v34, v102 dst_sel:DWORD dst_unused:UNUSED_PAD src0_sel:WORD_1 src1_sel:DWORD
	v_add_f16_e32 v90, v90, v93
	v_mul_f16_sdwa v108, v35, v109 dst_sel:DWORD dst_unused:UNUSED_PAD src0_sel:WORD_1 src1_sel:DWORD
	v_fmamk_f16 v93, v35, 0x3abb, v101
	v_pk_mul_f16 v36, 0xb482, v99 op_sel_hi:[0,1]
	v_add_f16_e32 v95, v105, v95
	v_fmamk_f16 v105, v104, 0x3482, v102
	v_fmac_f16_e32 v102, 0xb482, v104
	v_mul_f16_sdwa v82, v99, v82 dst_sel:DWORD dst_unused:UNUSED_PAD src0_sel:WORD_1 src1_sel:DWORD
	v_add_f16_e32 v88, v93, v88
	v_fmamk_f16 v93, v99, 0xb853, v108
	v_fma_f16 v101, v35, 0x3abb, -v101
	v_mul_f16_sdwa v83, v35, v83 dst_sel:DWORD dst_unused:UNUSED_PAD src0_sel:WORD_1 src1_sel:DWORD
	v_add_f16_e32 v96, v111, v96
	v_pk_fma_f16 v107, 0xbbad, v35, v36 op_sel:[0,0,1] op_sel_hi:[0,1,0]
	v_pk_fma_f16 v36, 0xbbad, v35, v36 op_sel:[0,0,1] op_sel_hi:[0,1,0] neg_lo:[0,0,1] neg_hi:[0,0,1]
	v_add_f16_e32 v94, v102, v94
	v_fmamk_f16 v102, v35, 0xb93d, v82
	v_add_f16_e32 v89, v93, v89
	v_add_f16_e32 v78, v101, v78
	v_fmamk_f16 v93, v99, 0x3a0c, v83
	v_fma_f16 v82, v35, 0xb93d, -v82
	v_fmac_f16_e32 v83, 0xba0c, v99
	v_mul_f16_sdwa v101, v99, v106 dst_sel:DWORD dst_unused:UNUSED_PAD src0_sel:WORD_1 src1_sel:DWORD
	v_add_f16_e32 v96, v105, v96
	v_bfi_b32 v105, 0xffff, v107, v36
	v_add_f16_e32 v80, v82, v80
	v_add_f16_e32 v82, v83, v86
	v_fmamk_f16 v83, v35, 0x36a6, v101
	v_pk_mul_f16 v77, 0xbbad, v77 op_sel_hi:[0,1]
	v_pk_add_f16 v92, v105, v92
	v_pk_mul_f16 v38, 0x3abb, v38 op_sel_hi:[0,1]
	v_add_f16_e32 v83, v83, v95
	v_pk_fma_f16 v95, 0xb482, v33, v77 op_sel:[0,0,1] op_sel_hi:[0,1,0]
	s_barrier
	buffer_gl0_inv
	v_add_f16_e32 v85, v102, v85
	v_add_f16_e32 v91, v93, v91
	ds_write2_b32 v60, v75, v92 offset1:1
	v_alignbit_b32 v75, s0, v95, 16
	v_pk_fma_f16 v33, 0xb482, v33, v77 op_sel:[0,0,1] op_sel_hi:[0,1,0] neg_lo:[0,1,0] neg_hi:[0,1,0]
	v_pk_fma_f16 v77, 0x3853, v76, v38 op_sel:[0,0,1] op_sel_hi:[0,1,0]
	v_pk_mul_f16 v39, 0xb93d, v39 op_sel_hi:[0,1]
	v_pack_b32_f16 v85, v85, v91
	v_pack_b32_f16 v88, v88, v89
	v_pk_add_f16 v75, v32, v75
	v_alignbit_b32 v89, s0, v32, 16
	v_pk_add_f16 v33, v32, v33 op_sel:[1,0] op_sel_hi:[0,1]
	v_alignbit_b32 v91, s0, v77, 16
	v_pk_fma_f16 v38, 0x3853, v76, v38 op_sel:[0,0,1] op_sel_hi:[0,1,0] neg_lo:[0,1,0] neg_hi:[0,1,0]
	v_pk_fma_f16 v76, 0xba0c, v98, v39 op_sel:[0,0,1] op_sel_hi:[0,1,0]
	v_pk_mul_f16 v34, 0x36a6, v34 op_sel_hi:[0,1]
	v_pk_add_f16 v89, v89, v95
	v_pk_add_f16 v75, v91, v75
	;; [unrolled: 1-line block ×3, first 2 shown]
	v_alignbit_b32 v38, s0, v76, 16
	v_pk_fma_f16 v39, 0xba0c, v98, v39 op_sel:[0,0,1] op_sel_hi:[0,1,0] neg_lo:[0,1,0] neg_hi:[0,1,0]
	v_pk_fma_f16 v91, 0x3b47, v104, v34 op_sel:[0,0,1] op_sel_hi:[0,1,0]
	v_bfi_b32 v84, 0xffff, v84, v87
	v_mul_f16_sdwa v79, v35, v79 dst_sel:DWORD dst_unused:UNUSED_PAD src0_sel:WORD_1 src1_sel:DWORD
	v_fma_f16 v93, v35, 0x36a6, -v101
	v_pk_add_f16 v77, v77, v89
	v_pk_add_f16 v38, v38, v75
	;; [unrolled: 1-line block ×3, first 2 shown]
	v_alignbit_b32 v39, s0, v91, 16
	v_pk_mul_f16 v35, 0xb08e, v35 op_sel_hi:[0,1]
	v_pk_add_f16 v32, v32, v84
	v_bfi_b32 v41, 0xffff, v41, v97
	v_pk_add_f16 v75, v76, v77
	v_pk_fma_f16 v34, 0x3b47, v104, v34 op_sel:[0,0,1] op_sel_hi:[0,1,0] neg_lo:[0,1,0] neg_hi:[0,1,0]
	v_pk_add_f16 v38, v39, v38
	v_pk_fma_f16 v39, 0xbbeb, v99, v35 op_sel:[0,0,1] op_sel_hi:[0,1,0]
	v_pk_add_f16 v32, v41, v32
	v_bfi_b32 v40, 0xffff, v40, v103
	v_fmamk_f16 v86, v99, 0xbb47, v79
	v_pk_add_f16 v33, v34, v33
	v_pk_fma_f16 v34, 0xbbeb, v99, v35 op_sel:[0,0,1] op_sel_hi:[0,1,0] neg_lo:[0,1,0] neg_hi:[0,1,0]
	v_pk_add_f16 v35, v91, v75
	v_alignbit_b32 v41, s0, v39, 16
	v_fmac_f16_e32 v79, 0x3b47, v99
	v_fmac_f16_e32 v108, 0x3853, v99
	v_pk_add_f16 v32, v40, v32
	v_bfi_b32 v37, 0xffff, v37, v100
	v_add_f16_e32 v86, v86, v96
	v_pk_add_f16 v33, v34, v33
	v_pk_add_f16 v34, v39, v35
	;; [unrolled: 1-line block ×3, first 2 shown]
	v_add_f16_e32 v90, v93, v90
	v_add_f16_e32 v79, v79, v94
	;; [unrolled: 1-line block ×3, first 2 shown]
	v_pk_add_f16 v32, v37, v32
	v_bfi_b32 v36, 0xffff, v36, v107
	v_add_nc_u32_e32 v70, 0x58, v42
	v_add_nc_u32_e32 v30, 0x84, v42
	;; [unrolled: 1-line block ×3, first 2 shown]
	v_pack_b32_f16 v38, v83, v86
	v_alignbit_b32 v34, v34, v33, 16
	v_pack_b32_f16 v33, v35, v33
	v_pack_b32_f16 v35, v80, v82
	;; [unrolled: 1-line block ×3, first 2 shown]
	v_pk_add_f16 v32, v36, v32
	v_pack_b32_f16 v36, v78, v81
	ds_write2_b32 v60, v88, v85 offset0:2 offset1:3
	ds_write_b32 v60, v38 offset:16
	ds_write2_b32 v60, v33, v34 offset0:5 offset1:6
	ds_write2_b32 v60, v37, v35 offset0:7 offset1:8
	;; [unrolled: 1-line block ×3, first 2 shown]
	s_and_saveexec_b32 s0, vcc_lo
	s_cbranch_execz .LBB0_13
; %bb.12:
	v_add_f16_sdwa v32, v65, v73 dst_sel:DWORD dst_unused:UNUSED_PAD src0_sel:WORD_1 src1_sel:DWORD
	v_sub_f16_e32 v33, v31, v61
	v_add_f16_e32 v34, v63, v74
	v_sub_f16_e32 v35, v27, v12
	v_add_f16_e32 v36, v64, v72
	v_mul_f16_e32 v37, 0xbbad, v32
	v_sub_f16_e32 v38, v29, v11
	v_mul_f16_e32 v41, 0x3abb, v34
	v_sub_f16_sdwa v76, v73, v65 dst_sel:DWORD dst_unused:UNUSED_PAD src0_sel:DWORD src1_sel:WORD_1
	v_mul_f16_e32 v77, 0xb93d, v36
	v_fmamk_f16 v60, v33, 0x3482, v37
	v_add_f16_e32 v75, v61, v31
	v_fmamk_f16 v78, v35, 0xb853, v41
	v_sub_f16_e32 v79, v74, v63
	v_fmamk_f16 v82, v38, 0x3a0c, v77
	v_add_f16_e32 v60, v71, v60
	v_mul_f16_e32 v111, 0xbbeb, v76
	v_add_f16_e32 v88, v11, v29
	v_mul_f16_e32 v116, 0x3482, v79
	v_sub_f16_e32 v91, v66, v67
	v_add_f16_e32 v60, v78, v60
	v_add_f16_e32 v78, v12, v27
	v_fmamk_f16 v115, v75, 0xb08e, v111
	v_mul_f16_e32 v81, 0xb482, v76
	v_add_f16_e32 v93, v14, v15
	v_add_f16_e32 v60, v82, v60
	v_sub_f16_e32 v82, v72, v64
	v_add_f16_e32 v115, v28, v115
	v_fmamk_f16 v118, v78, 0xbbad, v116
	v_mul_f16_e32 v121, 0xb853, v91
	v_add_f16_e32 v31, v31, v28
	v_mul_f16_e32 v119, 0x3b47, v82
	v_add_f16_e32 v39, v67, v66
	v_add_f16_e32 v115, v118, v115
	v_mul_f16_e32 v83, 0x3853, v79
	v_fmamk_f16 v84, v75, 0xbbad, v81
	v_fmamk_f16 v118, v88, 0x36a6, v119
	v_add_f16_e32 v73, v73, v71
	v_add_f16_e32 v27, v27, v31
	v_sub_f16_e32 v40, v15, v14
	v_mul_f16_e32 v80, 0x36a6, v39
	v_add_f16_e32 v115, v118, v115
	v_fmamk_f16 v118, v93, 0x3abb, v121
	v_add_f16_e32 v86, v69, v68
	v_add_f16_e32 v84, v28, v84
	v_fmamk_f16 v87, v78, 0x3abb, v83
	v_mul_f16_e32 v89, 0xba0c, v82
	v_mul_f16_e32 v99, 0xba0c, v76
	v_add_f16_e32 v115, v118, v115
	v_mul_f16_e32 v118, 0xbb47, v76
	v_mul_f16_e32 v76, 0xb853, v76
	v_add_f16_e32 v31, v74, v73
	v_add_f16_e32 v27, v29, v27
	v_fmamk_f16 v85, v40, 0xbb47, v80
	v_mul_f16_e32 v90, 0xb08e, v86
	v_sub_f16_e32 v92, v65, v13
	v_add_f16_e32 v84, v87, v84
	v_fmamk_f16 v87, v88, 0xb93d, v89
	v_mul_f16_e32 v94, 0x3b47, v91
	v_fmamk_f16 v73, v75, 0x3abb, v76
	v_mul_f16_e32 v74, 0xbb47, v79
	v_add_f16_e32 v29, v72, v31
	v_add_f16_e32 v15, v15, v27
	;; [unrolled: 1-line block ×3, first 2 shown]
	v_fmamk_f16 v85, v92, 0x3beb, v90
	v_add_f16_e32 v84, v87, v84
	v_fmamk_f16 v87, v93, 0x36a6, v94
	v_mul_f16_e32 v95, 0xb93d, v32
	v_add_f16_e32 v31, v28, v73
	v_fmamk_f16 v72, v78, 0x36a6, v74
	v_mul_f16_e32 v73, 0xbbeb, v82
	v_add_f16_e32 v27, v66, v29
	v_add_f16_e32 v15, v65, v15
	v_add_f16_e32 v60, v85, v60
	v_sub_f16_e32 v85, v68, v69
	v_add_f16_e32 v84, v87, v84
	v_fmamk_f16 v87, v33, 0x3a0c, v95
	v_mul_f16_e32 v96, 0xb08e, v34
	v_add_f16_e32 v97, v13, v65
	v_add_f16_e32 v31, v72, v31
	v_fmamk_f16 v66, v88, 0xb08e, v73
	v_add_f16_e32 v27, v68, v27
	v_mul_f16_e32 v72, 0xba0c, v91
	v_add_f16_e32 v13, v13, v15
	v_add_f16_e32 v87, v71, v87
	v_fmamk_f16 v100, v35, 0xbbeb, v96
	v_mul_f16_e32 v101, 0x3abb, v36
	v_add_f16_e32 v31, v66, v31
	v_add_f16_e32 v15, v69, v27
	v_fmamk_f16 v27, v93, 0xb93d, v72
	;; [unrolled: 4-line block ×3, first 2 shown]
	v_mul_f16_e32 v105, 0xbbad, v39
	v_add_f16_e32 v27, v27, v31
	v_fmamk_f16 v31, v97, 0xbbad, v66
	v_add_f16_e32 v11, v11, v13
	v_mul_f16_e32 v98, 0xbbeb, v85
	v_add_f16_e32 v87, v100, v87
	v_fmamk_f16 v100, v40, 0x3482, v105
	v_mul_f16_e32 v108, 0x36a6, v86
	v_add_f16_e32 v11, v12, v11
	v_add_f16_e32 v12, v31, v27
	v_fma_f16 v27, v75, 0xbbad, -v81
	v_fmamk_f16 v102, v97, 0xb08e, v98
	v_fmamk_f16 v103, v75, 0xb93d, v99
	v_mul_f16_e32 v104, 0x3beb, v79
	v_add_f16_e32 v87, v100, v87
	v_fmamk_f16 v100, v92, 0xbb47, v108
	v_mul_f16_e32 v110, 0xb08e, v32
	v_add_f16_e32 v27, v28, v27
	v_fma_f16 v31, v78, 0x3abb, -v83
	v_add_f16_e32 v103, v28, v103
	v_fmamk_f16 v106, v78, 0xb08e, v104
	v_mul_f16_e32 v107, 0xb853, v82
	v_add_f16_e32 v84, v102, v84
	v_add_f16_e32 v87, v100, v87
	v_fmamk_f16 v100, v33, 0x3beb, v110
	v_mul_f16_e32 v102, 0xbbad, v34
	v_add_f16_e32 v27, v31, v27
	v_fma_f16 v31, v88, 0xb93d, -v89
	v_add_f16_e32 v103, v106, v103
	v_fmamk_f16 v106, v88, 0x3abb, v107
	v_mul_f16_e32 v109, 0xb482, v91
	v_add_f16_e32 v100, v71, v100
	v_fmamk_f16 v112, v35, 0xb482, v102
	v_mul_f16_e32 v113, 0x36a6, v36
	v_add_f16_e32 v27, v31, v27
	v_fma_f16 v31, v93, 0x36a6, -v94
	v_add_f16_e32 v103, v106, v103
	v_fmamk_f16 v106, v93, 0xbbad, v109
	v_add_f16_e32 v100, v112, v100
	v_fmamk_f16 v112, v38, 0xbb47, v113
	v_mul_f16_e32 v117, 0x3abb, v39
	v_fmac_f16_e32 v37, 0xb482, v33
	v_add_f16_e32 v14, v67, v15
	v_add_f16_e32 v27, v31, v27
	v_fma_f16 v31, v97, 0xb08e, -v98
	v_add_f16_e32 v103, v106, v103
	v_mul_f16_e32 v106, 0x3b47, v85
	v_add_f16_e32 v100, v112, v100
	v_fmamk_f16 v112, v40, 0x3853, v117
	v_add_f16_e32 v15, v71, v37
	v_fmac_f16_e32 v41, 0x3853, v35
	v_add_f16_e32 v13, v64, v14
	v_add_f16_e32 v27, v31, v27
	v_fma_f16 v31, v75, 0xb08e, -v111
	v_fmamk_f16 v126, v75, 0x36a6, v118
	v_mul_f16_e32 v127, 0xba0c, v79
	v_fmamk_f16 v114, v97, 0x36a6, v106
	v_mul_f16_e32 v120, 0xb93d, v86
	v_add_f16_e32 v100, v112, v100
	v_mul_f16_e32 v112, 0x36a6, v32
	v_add_f16_e32 v14, v41, v15
	v_add_f16_e32 v13, v63, v13
	v_fma_f16 v41, v75, 0xb93d, -v99
	v_add_f16_e32 v31, v28, v31
	v_fma_f16 v63, v78, 0xbbad, -v116
	v_add_f16_e32 v126, v28, v126
	v_fmamk_f16 v129, v78, 0xb93d, v127
	v_mul_f16_e32 v130, 0x3482, v82
	v_fmamk_f16 v122, v92, 0x3a0c, v120
	v_add_f16_e32 v103, v114, v103
	v_fmamk_f16 v114, v33, 0x3b47, v112
	v_mul_f16_e32 v123, 0xb93d, v34
	v_add_f16_e32 v11, v61, v11
	v_add_f16_e32 v41, v28, v41
	v_fma_f16 v61, v78, 0xb08e, -v104
	v_fmac_f16_e32 v112, 0xbb47, v33
	v_add_f16_e32 v31, v63, v31
	v_fma_f16 v63, v88, 0x36a6, -v119
	v_add_f16_e32 v126, v129, v126
	v_fmamk_f16 v129, v88, 0xbbad, v130
	v_mul_f16_e32 v132, 0x3beb, v91
	v_mul_f16_e32 v32, 0x3abb, v32
	v_add_f16_e32 v100, v122, v100
	v_add_f16_e32 v114, v71, v114
	v_fmamk_f16 v122, v35, 0x3a0c, v123
	v_mul_f16_e32 v124, 0xbbad, v36
	v_mul_f16_e32 v125, 0xba0c, v85
	v_add_f16_sdwa v13, v65, v13 dst_sel:DWORD dst_unused:UNUSED_PAD src0_sel:WORD_1 src1_sel:DWORD
	v_add_f16_e32 v41, v61, v41
	v_fma_f16 v61, v88, 0x3abb, -v107
	v_add_f16_e32 v65, v71, v112
	v_fmac_f16_e32 v123, 0xba0c, v35
	v_add_f16_e32 v31, v63, v31
	v_fma_f16 v63, v93, 0x3abb, -v121
	v_add_f16_e32 v126, v129, v126
	v_fmamk_f16 v129, v93, 0xb08e, v132
	v_mul_f16_e32 v133, 0x3853, v85
	v_fmamk_f16 v134, v33, 0x3853, v32
	v_mul_f16_e32 v34, 0x36a6, v34
	v_add_f16_e32 v114, v122, v114
	v_fmamk_f16 v122, v38, 0xb482, v124
	v_mul_f16_e32 v128, 0xb08e, v39
	v_add_f16_e32 v41, v61, v41
	v_fma_f16 v61, v93, 0xbbad, -v109
	v_add_f16_e32 v65, v123, v65
	v_fmac_f16_e32 v124, 0x3482, v38
	v_add_f16_e32 v31, v63, v31
	v_fma_f16 v63, v97, 0xb93d, -v125
	v_fmamk_f16 v131, v97, 0xb93d, v125
	v_add_f16_e32 v126, v129, v126
	v_fmamk_f16 v129, v97, 0x3abb, v133
	v_add_f16_e32 v134, v71, v134
	v_fmamk_f16 v136, v35, 0x3b47, v34
	v_mul_f16_e32 v36, 0xb08e, v36
	v_fmac_f16_e32 v95, 0xba0c, v33
	v_add_f16_e32 v114, v122, v114
	v_fmamk_f16 v122, v40, 0xbbeb, v128
	v_fmac_f16_e32 v110, 0xbbeb, v33
	v_add_f16_e32 v41, v61, v41
	v_fma_f16 v64, v97, 0x36a6, -v106
	v_add_f16_e32 v65, v124, v65
	v_fmac_f16_e32 v128, 0x3beb, v40
	v_add_f16_e32 v31, v63, v31
	v_fma_f16 v63, v75, 0x36a6, -v118
	v_fmac_f16_e32 v32, 0xb853, v33
	v_fma_f16 v33, v75, 0x3abb, -v76
	v_add_f16_e32 v115, v131, v115
	v_add_f16_e32 v126, v129, v126
	;; [unrolled: 1-line block ×3, first 2 shown]
	v_fmamk_f16 v131, v38, 0x3beb, v36
	v_mul_f16_e32 v39, 0xb93d, v39
	v_add_f16_e32 v37, v71, v95
	v_fmac_f16_e32 v96, 0x3beb, v35
	v_add_f16_e32 v61, v71, v110
	v_fmac_f16_e32 v102, 0x3482, v35
	v_add_f16_e32 v41, v64, v41
	v_add_f16_e32 v64, v128, v65
	;; [unrolled: 1-line block ×3, first 2 shown]
	v_fma_f16 v65, v78, 0xb93d, -v127
	v_add_f16_e32 v32, v71, v32
	v_fmac_f16_e32 v34, 0xbb47, v35
	v_add_f16_e32 v28, v28, v33
	v_fma_f16 v33, v78, 0x36a6, -v74
	v_add_f16_e32 v129, v131, v129
	v_fmamk_f16 v131, v40, 0x3a0c, v39
	v_mul_f16_e32 v29, 0xbbad, v86
	v_fmac_f16_e32 v77, 0xba0c, v38
	v_add_f16_e32 v37, v96, v37
	v_fmac_f16_e32 v101, 0xb853, v38
	v_add_f16_e32 v61, v102, v61
	;; [unrolled: 2-line block ×3, first 2 shown]
	v_fma_f16 v63, v88, 0xbbad, -v130
	v_add_f16_e32 v32, v34, v32
	v_fmac_f16_e32 v36, 0xbbeb, v38
	v_add_f16_e32 v28, v33, v28
	v_fma_f16 v33, v88, 0xb08e, -v73
	v_add_f16_e32 v114, v122, v114
	v_mul_f16_e32 v122, 0x3abb, v86
	v_add_f16_e32 v79, v131, v129
	v_fmamk_f16 v68, v92, 0x3482, v29
	v_add_f16_e32 v14, v77, v14
	v_fmac_f16_e32 v80, 0x3b47, v40
	v_add_f16_e32 v37, v101, v37
	v_fmac_f16_e32 v105, 0xb482, v40
	;; [unrolled: 2-line block ×3, first 2 shown]
	v_add_f16_e32 v34, v63, v35
	v_fma_f16 v35, v93, 0xb08e, -v132
	v_add_f16_e32 v32, v36, v32
	v_fmac_f16_e32 v39, 0xba0c, v40
	v_add_f16_e32 v28, v33, v28
	v_fma_f16 v33, v93, 0xb93d, -v72
	v_fmamk_f16 v135, v92, 0xb853, v122
	v_add_f16_e32 v15, v68, v79
	v_add_f16_e32 v14, v80, v14
	v_fmac_f16_e32 v90, 0xbbeb, v92
	v_add_f16_e32 v37, v105, v37
	v_fmac_f16_e32 v108, 0x3b47, v92
	;; [unrolled: 2-line block ×3, first 2 shown]
	v_fmac_f16_e32 v122, 0x3853, v92
	v_add_f16_e32 v34, v35, v34
	v_fma_f16 v35, v97, 0x3abb, -v133
	v_add_f16_e32 v32, v39, v32
	v_fmac_f16_e32 v29, 0xb482, v92
	v_add_f16_e32 v28, v33, v28
	v_fma_f16 v33, v97, 0xbbad, -v66
	v_add_f16_e32 v114, v135, v114
	v_lshl_add_u32 v36, v59, 2, v57
	v_pack_b32_f16 v12, v12, v15
	v_pack_b32_f16 v11, v11, v13
	v_add_f16_e32 v14, v90, v14
	v_add_f16_e32 v37, v108, v37
	;; [unrolled: 1-line block ×7, first 2 shown]
	ds_write2_b32 v36, v11, v12 offset1:1
	v_pack_b32_f16 v11, v115, v100
	v_pack_b32_f16 v12, v126, v114
	;; [unrolled: 1-line block ×9, first 2 shown]
	ds_write2_b32 v36, v12, v11 offset0:2 offset1:3
	ds_write2_b32 v36, v33, v32 offset0:4 offset1:5
	;; [unrolled: 1-line block ×4, first 2 shown]
	ds_write_b32 v36, v27 offset:40
.LBB0_13:
	s_or_b32 exec_lo, exec_lo, s0
	s_waitcnt lgkmcnt(0)
	s_barrier
	buffer_gl0_inv
	ds_read2_b32 v[11:12], v42 offset1:11
	ds_read2_b32 v[13:14], v42 offset0:22 offset1:33
	ds_read2_b32 v[27:28], v42 offset0:66 offset1:77
	;; [unrolled: 1-line block ×6, first 2 shown]
	ds_read_b32 v15, v42 offset:616
	s_waitcnt lgkmcnt(0)
	s_barrier
	buffer_gl0_inv
	s_mov_b32 s4, 0x8d3018d3
	s_mov_b32 s5, 0x3f78d301
	v_lshrrev_b32_e32 v29, 16, v11
	v_lshrrev_b32_e32 v39, 16, v14
	;; [unrolled: 1-line block ×4, first 2 shown]
	v_mul_f16_sdwa v72, v0, v14 dst_sel:DWORD dst_unused:UNUSED_PAD src0_sel:WORD_1 src1_sel:DWORD
	v_lshrrev_b32_e32 v60, 16, v35
	v_mul_f16_sdwa v71, v0, v39 dst_sel:DWORD dst_unused:UNUSED_PAD src0_sel:WORD_1 src1_sel:DWORD
	v_lshrrev_b32_e32 v57, 16, v33
	v_lshrrev_b32_e32 v61, 16, v28
	v_mul_f16_sdwa v73, v1, v40 dst_sel:DWORD dst_unused:UNUSED_PAD src0_sel:WORD_1 src1_sel:DWORD
	v_mul_f16_sdwa v74, v1, v27 dst_sel:DWORD dst_unused:UNUSED_PAD src0_sel:WORD_1 src1_sel:DWORD
	;; [unrolled: 1-line block ×3, first 2 shown]
	v_fmac_f16_e32 v71, v0, v14
	v_fma_f16 v14, v0, v39, -v72
	v_mul_f16_sdwa v72, v0, v60 dst_sel:DWORD dst_unused:UNUSED_PAD src0_sel:WORD_1 src1_sel:DWORD
	v_lshrrev_b32_e32 v63, 16, v37
	v_lshrrev_b32_e32 v64, 16, v34
	v_fmac_f16_e32 v73, v1, v27
	v_fma_f16 v27, v1, v40, -v74
	v_fmac_f16_e32 v75, v2, v32
	v_mul_f16_sdwa v32, v2, v32 dst_sel:DWORD dst_unused:UNUSED_PAD src0_sel:WORD_1 src1_sel:DWORD
	v_mul_f16_sdwa v39, v3, v57 dst_sel:DWORD dst_unused:UNUSED_PAD src0_sel:WORD_1 src1_sel:DWORD
	;; [unrolled: 1-line block ×4, first 2 shown]
	v_fmac_f16_e32 v72, v0, v35
	v_mul_f16_sdwa v35, v1, v61 dst_sel:DWORD dst_unused:UNUSED_PAD src0_sel:WORD_1 src1_sel:DWORD
	v_lshrrev_b32_e32 v66, 16, v36
	v_lshrrev_b32_e32 v67, 16, v31
	v_fma_f16 v32, v2, v41, -v32
	v_fmac_f16_e32 v39, v3, v33
	v_fma_f16 v33, v3, v57, -v40
	v_fma_f16 v0, v0, v60, -v74
	v_mul_f16_sdwa v40, v1, v28 dst_sel:DWORD dst_unused:UNUSED_PAD src0_sel:WORD_1 src1_sel:DWORD
	v_mul_f16_sdwa v41, v2, v63 dst_sel:DWORD dst_unused:UNUSED_PAD src0_sel:WORD_1 src1_sel:DWORD
	;; [unrolled: 1-line block ×4, first 2 shown]
	v_fmac_f16_e32 v35, v1, v28
	v_mul_f16_sdwa v28, v3, v34 dst_sel:DWORD dst_unused:UNUSED_PAD src0_sel:WORD_1 src1_sel:DWORD
	v_lshrrev_b32_e32 v68, 16, v38
	v_fma_f16 v1, v1, v61, -v40
	v_fmac_f16_e32 v41, v2, v37
	v_fma_f16 v2, v2, v63, -v57
	v_fmac_f16_e32 v60, v3, v34
	v_mul_f16_sdwa v34, v4, v66 dst_sel:DWORD dst_unused:UNUSED_PAD src0_sel:WORD_1 src1_sel:DWORD
	v_mul_f16_sdwa v40, v5, v67 dst_sel:DWORD dst_unused:UNUSED_PAD src0_sel:WORD_1 src1_sel:DWORD
	;; [unrolled: 1-line block ×3, first 2 shown]
	v_fma_f16 v3, v3, v64, -v28
	v_add_f16_e32 v28, v73, v75
	v_lshrrev_b32_e32 v69, 16, v15
	v_mul_f16_sdwa v37, v4, v36 dst_sel:DWORD dst_unused:UNUSED_PAD src0_sel:WORD_1 src1_sel:DWORD
	v_fmac_f16_e32 v34, v4, v36
	v_fmac_f16_e32 v40, v5, v31
	v_fma_f16 v5, v5, v67, -v57
	v_mul_f16_sdwa v31, v6, v68 dst_sel:DWORD dst_unused:UNUSED_PAD src0_sel:WORD_1 src1_sel:DWORD
	v_mul_f16_sdwa v36, v6, v38 dst_sel:DWORD dst_unused:UNUSED_PAD src0_sel:WORD_1 src1_sel:DWORD
	v_add_f16_e32 v57, v11, v71
	v_fma_f16 v28, -0.5, v28, v11
	v_sub_f16_e32 v61, v14, v33
	v_fma_f16 v4, v4, v66, -v37
	v_mul_f16_sdwa v37, v7, v69 dst_sel:DWORD dst_unused:UNUSED_PAD src0_sel:WORD_1 src1_sel:DWORD
	v_fmac_f16_e32 v31, v6, v38
	v_fma_f16 v6, v6, v68, -v36
	v_add_f16_e32 v36, v57, v73
	v_fmamk_f16 v38, v61, 0xbb9c, v28
	v_sub_f16_e32 v57, v27, v32
	v_sub_f16_e32 v63, v71, v73
	;; [unrolled: 1-line block ×3, first 2 shown]
	v_add_f16_e32 v66, v71, v39
	v_fmac_f16_e32 v28, 0x3b9c, v61
	v_fmac_f16_e32 v37, v7, v15
	v_mul_f16_sdwa v15, v7, v15 dst_sel:DWORD dst_unused:UNUSED_PAD src0_sel:WORD_1 src1_sel:DWORD
	v_add_f16_e32 v36, v36, v75
	v_fmac_f16_e32 v38, 0xb8b4, v57
	v_add_f16_e32 v63, v63, v64
	v_fma_f16 v11, -0.5, v66, v11
	v_sub_f16_e32 v64, v73, v71
	v_sub_f16_e32 v66, v75, v39
	v_fmac_f16_e32 v28, 0x38b4, v57
	v_add_f16_e32 v67, v29, v14
	v_add_f16_e32 v68, v27, v32
	v_fma_f16 v7, v7, v69, -v15
	v_add_f16_e32 v15, v36, v39
	v_fmac_f16_e32 v38, 0x34f2, v63
	v_fmamk_f16 v36, v57, 0x3b9c, v11
	v_add_f16_e32 v64, v64, v66
	v_fmac_f16_e32 v11, 0xbb9c, v57
	v_add_f16_e32 v57, v67, v27
	v_fma_f16 v66, -0.5, v68, v29
	v_sub_f16_e32 v39, v71, v39
	v_fmac_f16_e32 v28, 0x34f2, v63
	v_add_f16_e32 v63, v14, v33
	v_sub_f16_e32 v68, v14, v27
	v_sub_f16_e32 v14, v27, v14
	;; [unrolled: 1-line block ×3, first 2 shown]
	v_fmac_f16_e32 v36, 0xb8b4, v61
	v_fmac_f16_e32 v11, 0x38b4, v61
	v_add_f16_e32 v57, v57, v32
	v_fmamk_f16 v61, v39, 0x3b9c, v66
	v_sub_f16_e32 v67, v73, v75
	v_sub_f16_e32 v69, v33, v32
	v_fmac_f16_e32 v29, -0.5, v63
	v_fmac_f16_e32 v66, 0xbb9c, v39
	v_add_f16_e32 v32, v35, v41
	v_add_f16_e32 v14, v14, v27
	v_add_f16_e32 v27, v12, v72
	v_lshrrev_b32_e32 v59, 16, v12
	v_fmac_f16_e32 v36, 0x34f2, v64
	v_fmac_f16_e32 v11, 0x34f2, v64
	v_add_f16_e32 v57, v57, v33
	v_fmac_f16_e32 v61, 0x38b4, v67
	v_add_f16_e32 v63, v68, v69
	v_fmamk_f16 v64, v67, 0xbb9c, v29
	v_fmac_f16_e32 v66, 0xb8b4, v67
	v_fma_f16 v32, -0.5, v32, v12
	v_sub_f16_e32 v33, v0, v3
	v_fmac_f16_e32 v29, 0x3b9c, v67
	v_add_f16_e32 v27, v27, v35
	v_add_f16_e32 v71, v72, v60
	v_fmac_f16_e32 v61, 0x34f2, v63
	v_fmac_f16_e32 v64, 0x38b4, v39
	;; [unrolled: 1-line block ×3, first 2 shown]
	v_fmamk_f16 v63, v33, 0xbb9c, v32
	v_sub_f16_e32 v67, v1, v2
	v_sub_f16_e32 v68, v72, v35
	;; [unrolled: 1-line block ×3, first 2 shown]
	v_fmac_f16_e32 v29, 0xb8b4, v39
	v_add_f16_e32 v27, v27, v41
	v_fmac_f16_e32 v12, -0.5, v71
	v_fmac_f16_e32 v32, 0x3b9c, v33
	v_add_f16_e32 v71, v59, v0
	v_fmac_f16_e32 v64, 0x34f2, v14
	v_fmac_f16_e32 v63, 0xb8b4, v67
	v_add_f16_e32 v39, v68, v69
	v_fmac_f16_e32 v29, 0x34f2, v14
	v_add_f16_e32 v14, v27, v60
	v_fmamk_f16 v27, v67, 0x3b9c, v12
	v_sub_f16_e32 v68, v35, v72
	v_sub_f16_e32 v69, v41, v60
	v_fmac_f16_e32 v32, 0x38b4, v67
	v_add_f16_e32 v73, v1, v2
	v_fmac_f16_e32 v12, 0xbb9c, v67
	v_add_f16_e32 v67, v71, v1
	v_fmac_f16_e32 v27, 0xb8b4, v33
	v_add_f16_e32 v68, v68, v69
	v_fma_f16 v69, -0.5, v73, v59
	v_sub_f16_e32 v60, v72, v60
	v_fmac_f16_e32 v12, 0x38b4, v33
	v_add_f16_e32 v33, v67, v2
	v_add_f16_e32 v67, v0, v3
	v_fmac_f16_e32 v63, 0x34f2, v39
	v_fmac_f16_e32 v32, 0x34f2, v39
	v_fmamk_f16 v39, v60, 0x3b9c, v69
	v_sub_f16_e32 v35, v35, v41
	v_sub_f16_e32 v41, v0, v1
	;; [unrolled: 1-line block ×3, first 2 shown]
	v_fmac_f16_e32 v59, -0.5, v67
	v_fmac_f16_e32 v69, 0xbb9c, v60
	v_sub_f16_e32 v0, v1, v0
	v_sub_f16_e32 v1, v2, v3
	v_add_f16_e32 v2, v40, v31
	v_add_f16_e32 v33, v33, v3
	v_fmac_f16_e32 v39, 0x38b4, v35
	v_add_f16_e32 v41, v41, v71
	v_fmamk_f16 v67, v35, 0xbb9c, v59
	v_fmac_f16_e32 v69, 0xb8b4, v35
	v_add_f16_e32 v0, v0, v1
	v_fmac_f16_e32 v59, 0x3b9c, v35
	v_add_f16_e32 v1, v13, v34
	v_fma_f16 v2, -0.5, v2, v13
	v_sub_f16_e32 v3, v4, v7
	v_fmac_f16_e32 v27, 0x34f2, v68
	v_fmac_f16_e32 v12, 0x34f2, v68
	;; [unrolled: 1-line block ×6, first 2 shown]
	v_add_f16_e32 v1, v1, v40
	v_fmamk_f16 v35, v3, 0xbb9c, v2
	v_sub_f16_e32 v41, v5, v6
	v_sub_f16_e32 v60, v34, v40
	;; [unrolled: 1-line block ×3, first 2 shown]
	v_fmac_f16_e32 v2, 0x3b9c, v3
	v_add_f16_e32 v71, v34, v37
	v_lshrrev_b32_e32 v65, 16, v13
	v_add_f16_e32 v1, v1, v31
	v_fmac_f16_e32 v35, 0xb8b4, v41
	v_add_f16_e32 v60, v60, v68
	v_fmac_f16_e32 v2, 0x38b4, v41
	v_fmac_f16_e32 v13, -0.5, v71
	v_sub_f16_e32 v68, v40, v34
	v_sub_f16_e32 v71, v31, v37
	v_fmac_f16_e32 v67, 0x34f2, v0
	v_fmac_f16_e32 v59, 0x34f2, v0
	v_add_f16_e32 v0, v1, v37
	v_fmac_f16_e32 v35, 0x34f2, v60
	v_fmac_f16_e32 v2, 0x34f2, v60
	v_fmamk_f16 v1, v41, 0x3b9c, v13
	v_add_f16_e32 v60, v5, v6
	v_fmac_f16_e32 v13, 0xbb9c, v41
	v_sub_f16_e32 v34, v34, v37
	v_add_f16_e32 v37, v68, v71
	v_add_f16_e32 v68, v4, v7
	;; [unrolled: 1-line block ×3, first 2 shown]
	v_fma_f16 v60, -0.5, v60, v65
	v_fmac_f16_e32 v1, 0xb8b4, v3
	v_fmac_f16_e32 v13, 0x38b4, v3
	v_sub_f16_e32 v31, v40, v31
	v_fmac_f16_e32 v65, -0.5, v68
	v_add_f16_e32 v3, v41, v5
	v_fmac_f16_e32 v1, 0x34f2, v37
	v_fmac_f16_e32 v13, 0x34f2, v37
	v_sub_f16_e32 v37, v4, v5
	v_fmamk_f16 v68, v31, 0xbb9c, v65
	v_sub_f16_e32 v4, v5, v4
	v_sub_f16_e32 v5, v6, v7
	v_fmac_f16_e32 v65, 0x3b9c, v31
	v_fmamk_f16 v41, v34, 0x3b9c, v60
	v_sub_f16_e32 v40, v7, v6
	v_fmac_f16_e32 v60, 0xbb9c, v34
	v_fmac_f16_e32 v68, 0x38b4, v34
	v_add_f16_e32 v4, v4, v5
	v_fmac_f16_e32 v65, 0xb8b4, v34
	v_add_f16_e32 v3, v3, v6
	;; [unrolled: 2-line block ×3, first 2 shown]
	v_fmac_f16_e32 v60, 0xb8b4, v31
	v_fmac_f16_e32 v68, 0x34f2, v4
	;; [unrolled: 1-line block ×3, first 2 shown]
	v_pack_b32_f16 v4, v15, v57
	v_pack_b32_f16 v5, v38, v61
	v_add_f16_e32 v3, v3, v7
	v_fmac_f16_e32 v41, 0x34f2, v6
	v_fmac_f16_e32 v60, 0x34f2, v6
	v_pack_b32_f16 v6, v36, v64
	v_pack_b32_f16 v7, v11, v29
	;; [unrolled: 1-line block ×4, first 2 shown]
	ds_write2_b32 v42, v4, v5 offset1:11
	ds_write2_b32 v42, v6, v7 offset0:22 offset1:33
	ds_write2_b32 v42, v11, v14 offset0:44 offset1:55
	v_pack_b32_f16 v4, v63, v39
	v_pack_b32_f16 v5, v27, v67
	;; [unrolled: 1-line block ×9, first 2 shown]
	ds_write2_b32 v42, v4, v5 offset0:66 offset1:77
	ds_write2_b32 v42, v6, v7 offset0:88 offset1:99
	;; [unrolled: 1-line block ×4, first 2 shown]
	ds_write_b32 v62, v2 offset:616
	s_waitcnt lgkmcnt(0)
	s_barrier
	buffer_gl0_inv
	ds_read2_b32 v[0:1], v42 offset1:11
	ds_read2_b32 v[2:3], v42 offset0:44 offset1:55
	ds_read2_b32 v[4:5], v42 offset0:110 offset1:121
	ds_read2_b32 v[6:7], v42 offset0:66 offset1:77
	ds_read2_b32 v[11:12], v42 offset0:22 offset1:33
	ds_read2_b32 v[13:14], v42 offset0:132 offset1:143
	ds_read2_b32 v[27:28], v42 offset0:88 offset1:99
	ds_read_b32 v15, v42 offset:616
	s_waitcnt lgkmcnt(7)
	v_lshrrev_b32_e32 v29, 16, v0
	s_waitcnt lgkmcnt(6)
	v_lshrrev_b32_e32 v31, 16, v3
	;; [unrolled: 2-line block ×4, first 2 shown]
	v_mul_f16_sdwa v61, v25, v3 dst_sel:DWORD dst_unused:UNUSED_PAD src0_sel:WORD_1 src1_sel:DWORD
	v_lshrrev_b32_e32 v35, 16, v5
	v_mul_f16_sdwa v59, v25, v31 dst_sel:DWORD dst_unused:UNUSED_PAD src0_sel:WORD_1 src1_sel:DWORD
	v_mul_f16_sdwa v63, v26, v32 dst_sel:DWORD dst_unused:UNUSED_PAD src0_sel:WORD_1 src1_sel:DWORD
	v_lshrrev_b32_e32 v37, 16, v7
	s_waitcnt lgkmcnt(2)
	v_lshrrev_b32_e32 v38, 16, v13
	s_waitcnt lgkmcnt(1)
	v_lshrrev_b32_e32 v40, 16, v27
	v_fmac_f16_e32 v59, v25, v3
	v_mul_f16_sdwa v3, v26, v4 dst_sel:DWORD dst_unused:UNUSED_PAD src0_sel:WORD_1 src1_sel:DWORD
	v_fma_f16 v25, v25, v31, -v61
	v_mul_f16_sdwa v31, v23, v34 dst_sel:DWORD dst_unused:UNUSED_PAD src0_sel:WORD_1 src1_sel:DWORD
	v_fmac_f16_e32 v63, v26, v4
	v_mul_f16_sdwa v4, v23, v6 dst_sel:DWORD dst_unused:UNUSED_PAD src0_sel:WORD_1 src1_sel:DWORD
	v_fma_f16 v3, v26, v32, -v3
	v_mul_f16_sdwa v26, v24, v35 dst_sel:DWORD dst_unused:UNUSED_PAD src0_sel:WORD_1 src1_sel:DWORD
	v_fmac_f16_e32 v31, v23, v6
	v_mul_f16_sdwa v6, v24, v5 dst_sel:DWORD dst_unused:UNUSED_PAD src0_sel:WORD_1 src1_sel:DWORD
	v_fma_f16 v4, v23, v34, -v4
	v_mul_f16_sdwa v23, v21, v37 dst_sel:DWORD dst_unused:UNUSED_PAD src0_sel:WORD_1 src1_sel:DWORD
	v_fmac_f16_e32 v26, v24, v5
	v_mul_f16_sdwa v5, v21, v7 dst_sel:DWORD dst_unused:UNUSED_PAD src0_sel:WORD_1 src1_sel:DWORD
	v_fma_f16 v6, v24, v35, -v6
	v_mul_f16_sdwa v24, v22, v38 dst_sel:DWORD dst_unused:UNUSED_PAD src0_sel:WORD_1 src1_sel:DWORD
	v_lshrrev_b32_e32 v41, 16, v14
	v_fmac_f16_e32 v23, v21, v7
	v_mul_f16_sdwa v7, v22, v13 dst_sel:DWORD dst_unused:UNUSED_PAD src0_sel:WORD_1 src1_sel:DWORD
	v_lshrrev_b32_e32 v60, 16, v28
	v_fma_f16 v5, v21, v37, -v5
	v_mul_f16_sdwa v21, v19, v40 dst_sel:DWORD dst_unused:UNUSED_PAD src0_sel:WORD_1 src1_sel:DWORD
	v_fmac_f16_e32 v24, v22, v13
	v_mul_f16_sdwa v13, v19, v27 dst_sel:DWORD dst_unused:UNUSED_PAD src0_sel:WORD_1 src1_sel:DWORD
	v_fma_f16 v7, v22, v38, -v7
	v_mul_f16_sdwa v22, v20, v41 dst_sel:DWORD dst_unused:UNUSED_PAD src0_sel:WORD_1 src1_sel:DWORD
	s_waitcnt lgkmcnt(0)
	v_lshrrev_b32_e32 v62, 16, v15
	v_fmac_f16_e32 v21, v19, v27
	v_mul_f16_sdwa v27, v20, v14 dst_sel:DWORD dst_unused:UNUSED_PAD src0_sel:WORD_1 src1_sel:DWORD
	v_fma_f16 v13, v19, v40, -v13
	v_mul_f16_sdwa v19, v17, v60 dst_sel:DWORD dst_unused:UNUSED_PAD src0_sel:WORD_1 src1_sel:DWORD
	v_fmac_f16_e32 v22, v20, v14
	v_mul_f16_sdwa v14, v17, v28 dst_sel:DWORD dst_unused:UNUSED_PAD src0_sel:WORD_1 src1_sel:DWORD
	v_fma_f16 v20, v20, v41, -v27
	v_mul_f16_sdwa v27, v18, v62 dst_sel:DWORD dst_unused:UNUSED_PAD src0_sel:WORD_1 src1_sel:DWORD
	v_fmac_f16_e32 v19, v17, v28
	v_mul_f16_sdwa v28, v18, v15 dst_sel:DWORD dst_unused:UNUSED_PAD src0_sel:WORD_1 src1_sel:DWORD
	v_fma_f16 v14, v17, v60, -v14
	v_add_f16_e32 v17, v59, v63
	v_fmac_f16_e32 v27, v18, v15
	v_add_f16_e32 v15, v0, v59
	v_fma_f16 v18, v18, v62, -v28
	v_add_f16_e32 v28, v25, v3
	v_fma_f16 v0, -0.5, v17, v0
	v_sub_f16_e32 v17, v25, v3
	v_add_f16_e32 v25, v29, v25
	v_lshrrev_b32_e32 v33, 16, v1
	v_fmac_f16_e32 v29, -0.5, v28
	v_sub_f16_e32 v28, v59, v63
	v_fmamk_f16 v32, v17, 0xbaee, v0
	v_fmac_f16_e32 v0, 0x3aee, v17
	v_add_f16_e32 v17, v31, v26
	v_add_f16_e32 v3, v25, v3
	v_fmamk_f16 v25, v28, 0x3aee, v29
	v_add_f16_e32 v34, v1, v31
	v_fmac_f16_e32 v29, 0xbaee, v28
	v_add_f16_e32 v28, v4, v6
	v_fmac_f16_e32 v1, -0.5, v17
	v_sub_f16_e32 v17, v4, v6
	v_add_f16_e32 v4, v33, v4
	v_add_f16_e32 v34, v34, v26
	v_fmac_f16_e32 v33, -0.5, v28
	v_sub_f16_e32 v26, v31, v26
	v_lshrrev_b32_e32 v36, 16, v11
	v_add_f16_e32 v4, v4, v6
	v_add_f16_e32 v6, v23, v24
	v_fmamk_f16 v28, v17, 0xbaee, v1
	v_fmac_f16_e32 v1, 0x3aee, v17
	v_fmamk_f16 v17, v26, 0x3aee, v33
	v_fmac_f16_e32 v33, 0xbaee, v26
	v_add_f16_e32 v26, v5, v7
	v_add_f16_e32 v31, v11, v23
	v_fma_f16 v6, -0.5, v6, v11
	v_sub_f16_e32 v11, v5, v7
	v_add_f16_e32 v5, v36, v5
	v_fmac_f16_e32 v36, -0.5, v26
	v_sub_f16_e32 v23, v23, v24
	v_lshrrev_b32_e32 v39, 16, v12
	v_add_f16_e32 v31, v31, v24
	v_add_f16_e32 v5, v5, v7
	;; [unrolled: 1-line block ×3, first 2 shown]
	v_fmamk_f16 v24, v11, 0xbaee, v6
	v_fmac_f16_e32 v6, 0x3aee, v11
	v_fmamk_f16 v11, v23, 0x3aee, v36
	v_fmac_f16_e32 v36, 0xbaee, v23
	v_add_f16_e32 v23, v13, v20
	v_add_f16_e32 v26, v12, v21
	v_fmac_f16_e32 v12, -0.5, v7
	v_sub_f16_e32 v7, v13, v20
	v_add_f16_e32 v13, v39, v13
	v_fmac_f16_e32 v39, -0.5, v23
	v_sub_f16_e32 v21, v21, v22
	v_lshrrev_b32_e32 v57, 16, v2
	v_add_f16_e32 v26, v26, v22
	v_fmamk_f16 v22, v7, 0xbaee, v12
	v_fmac_f16_e32 v12, 0x3aee, v7
	v_add_f16_e32 v7, v13, v20
	v_add_f16_e32 v13, v19, v27
	v_fmamk_f16 v20, v21, 0x3aee, v39
	v_fmac_f16_e32 v39, 0xbaee, v21
	v_add_f16_e32 v21, v14, v18
	v_add_f16_e32 v15, v15, v63
	;; [unrolled: 1-line block ×3, first 2 shown]
	v_fmac_f16_e32 v2, -0.5, v13
	v_sub_f16_e32 v13, v14, v18
	v_add_f16_e32 v14, v57, v14
	v_fmac_f16_e32 v57, -0.5, v21
	v_sub_f16_e32 v19, v19, v27
	v_pack_b32_f16 v3, v15, v3
	v_pack_b32_f16 v15, v32, v25
	;; [unrolled: 1-line block ×5, first 2 shown]
	v_add_f16_e32 v21, v23, v27
	v_fmamk_f16 v23, v13, 0xbaee, v2
	v_fmac_f16_e32 v2, 0x3aee, v13
	v_add_f16_e32 v13, v14, v18
	v_pack_b32_f16 v4, v34, v4
	v_pack_b32_f16 v5, v31, v5
	v_fmamk_f16 v14, v19, 0x3aee, v57
	v_fmac_f16_e32 v57, 0xbaee, v19
	ds_write_b32 v42, v3
	ds_write2_b32 v58, v15, v17 offset0:55 offset1:66
	ds_write2_b32 v58, v0, v1 offset0:110 offset1:121
	;; [unrolled: 1-line block ×3, first 2 shown]
	v_pack_b32_f16 v0, v24, v11
	v_pack_b32_f16 v1, v6, v36
	;; [unrolled: 1-line block ×8, first 2 shown]
	ds_write2_b32 v70, v0, v1 offset0:55 offset1:110
	ds_write_b32 v58, v3 offset:132
	ds_write2_b32 v30, v4, v5 offset0:55 offset1:110
	ds_write_b32 v58, v6 offset:176
	ds_write2_b32 v16, v7, v2 offset0:55 offset1:110
	s_waitcnt lgkmcnt(0)
	s_barrier
	buffer_gl0_inv
	ds_read2_b32 v[0:1], v42 offset1:15
	s_waitcnt lgkmcnt(0)
	v_lshrrev_b32_e32 v4, 16, v0
	v_lshrrev_b32_e32 v13, 16, v1
	v_mul_f16_sdwa v2, v56, v4 dst_sel:DWORD dst_unused:UNUSED_PAD src0_sel:WORD_1 src1_sel:DWORD
	v_mul_f16_sdwa v14, v55, v13 dst_sel:DWORD dst_unused:UNUSED_PAD src0_sel:WORD_1 src1_sel:DWORD
	v_fmac_f16_e32 v2, v56, v0
	v_mul_f16_sdwa v0, v56, v0 dst_sel:DWORD dst_unused:UNUSED_PAD src0_sel:WORD_1 src1_sel:DWORD
	v_fmac_f16_e32 v14, v55, v1
	v_mul_f16_sdwa v1, v55, v1 dst_sel:DWORD dst_unused:UNUSED_PAD src0_sel:WORD_1 src1_sel:DWORD
	v_cvt_f32_f16_e32 v2, v2
	v_fma_f16 v0, v56, v4, -v0
	v_fma_f16 v1, v55, v13, -v1
	v_cvt_f64_f32_e32 v[2:3], v2
	v_cvt_f32_f16_e32 v0, v0
	v_cvt_f32_f16_e32 v1, v1
	v_cvt_f64_f32_e32 v[4:5], v0
	v_mul_f64 v[2:3], v[2:3], s[4:5]
	v_mul_f64 v[4:5], v[4:5], s[4:5]
	v_and_or_b32 v0, 0x1ff, v3, v2
	v_lshrrev_b32_e32 v2, 8, v3
	v_bfe_u32 v6, v3, 20, 11
	v_cmp_ne_u32_e64 s0, 0, v0
	v_and_or_b32 v4, 0x1ff, v5, v4
	v_lshrrev_b32_e32 v12, 8, v5
	v_bfe_u32 v15, v5, 20, 11
	v_add_nc_u32_e32 v16, 0xfffffc10, v6
	v_cndmask_b32_e64 v0, 0, 1, s0
	v_cmp_ne_u32_e64 s0, 0, v4
	v_cmp_eq_u32_e64 s2, 0x40f, v16
	v_and_or_b32 v2, 0xffe, v2, v0
	v_sub_nc_u32_e32 v0, 0x3f1, v6
	v_cndmask_b32_e64 v4, 0, 1, s0
	v_cvt_f32_f16_e32 v6, v14
	v_or_b32_e32 v7, 0x1000, v2
	v_med3_i32 v0, v0, 0, 13
	v_and_or_b32 v4, 0xffe, v12, v4
	v_sub_nc_u32_e32 v12, 0x3f1, v15
	v_lshl_or_b32 v18, v16, 12, v2
	v_lshrrev_b32_e32 v11, v0, v7
	v_or_b32_e32 v14, 0x1000, v4
	v_med3_i32 v17, v12, 0, 13
	v_lshlrev_b32_e32 v0, v0, v11
	v_lshrrev_b32_e32 v19, v17, v14
	v_cmp_ne_u32_e64 s0, v0, v7
	v_cvt_f64_f32_e32 v[6:7], v6
	v_lshlrev_b32_e32 v17, v17, v19
	v_cndmask_b32_e64 v0, 0, 1, s0
	v_cmp_gt_i32_e64 s0, 1, v16
	v_or_b32_e32 v0, v11, v0
	v_mad_u64_u32 v[11:12], null, s10, v10, 0
	v_cndmask_b32_e64 v18, v18, v0, s0
	v_cmp_ne_u32_e64 s0, v17, v14
	v_add_nc_u32_e32 v17, 0xfffffc10, v15
	v_mov_b32_e32 v0, v12
	v_and_b32_e32 v20, 7, v18
	v_cndmask_b32_e64 v12, 0, 1, s0
	v_lshrrev_b32_e32 v14, 2, v18
	v_lshl_or_b32 v15, v17, 12, v4
	v_mul_f64 v[6:7], v[6:7], s[4:5]
	v_cmp_lt_i32_e64 s0, 5, v20
	v_cmp_eq_u32_e64 s1, 3, v20
	v_or_b32_e32 v12, v19, v12
	s_or_b32 s0, s1, s0
	v_add_co_ci_u32_e64 v14, s0, 0, v14, s0
	v_cmp_gt_i32_e64 s0, 1, v17
	v_cndmask_b32_e64 v15, v15, v12, s0
	v_cmp_ne_u32_e64 s0, 0, v2
	v_and_b32_e32 v18, 7, v15
	v_cndmask_b32_e64 v2, 0, 1, s0
	v_cmp_gt_i32_e64 s0, 31, v16
	v_and_or_b32 v6, 0x1ff, v7, v6
	v_cmp_eq_u32_e64 s1, 3, v18
	v_lshl_or_b32 v19, v2, 9, 0x7c00
	v_cvt_f64_f32_e32 v[1:2], v1
	v_cndmask_b32_e64 v14, 0x7c00, v14, s0
	v_cmp_lt_i32_e64 s0, 5, v18
	v_lshrrev_b32_e32 v18, 16, v3
	s_or_b32 s0, s1, s0
	v_mad_u64_u32 v[12:13], null, s11, v10, v[0:1]
	v_lshrrev_b32_e32 v0, 2, v15
	v_cndmask_b32_e64 v10, v14, v19, s2
	v_bfe_u32 v19, v7, 20, 11
	v_mad_u64_u32 v[13:14], null, s8, v53, 0
	v_add_co_ci_u32_e64 v3, s0, 0, v0, s0
	v_cmp_ne_u32_e64 s0, 0, v6
	v_lshrrev_b32_e32 v6, 8, v7
	v_sub_nc_u32_e32 v20, 0x3f1, v19
	ds_read2_b32 v[15:16], v42 offset0:30 offset1:45
	v_and_or_b32 v10, 0x8000, v18, v10
	v_cndmask_b32_e64 v0, 0, 1, s0
	v_cmp_ne_u32_e64 s0, 0, v4
	v_add_nc_u32_e32 v18, 0xfffffc10, v19
	v_and_b32_e32 v10, 0xffff, v10
	v_and_or_b32 v6, 0xffe, v6, v0
	v_mul_f64 v[0:1], v[1:2], s[4:5]
	v_cndmask_b32_e64 v4, 0, 1, s0
	v_cmp_gt_i32_e64 s0, 31, v17
	v_mov_b32_e32 v2, v14
	v_or_b32_e32 v21, 0x1000, v6
	v_med3_i32 v14, v20, 0, 13
	v_lshl_or_b32 v4, v4, 9, 0x7c00
	v_cndmask_b32_e64 v3, 0x7c00, v3, s0
	v_cmp_eq_u32_e64 s0, 0x40f, v17
	s_waitcnt lgkmcnt(0)
	v_lshrrev_b32_e32 v17, 16, v15
	v_cndmask_b32_e64 v4, v3, v4, s0
	v_mad_u64_u32 v[2:3], null, s9, v53, v[2:3]
	v_lshrrev_b32_e32 v3, 16, v5
	v_lshrrev_b32_e32 v5, v14, v21
	v_and_or_b32 v4, 0x8000, v3, v4
	v_lshlrev_b32_e32 v3, v14, v5
	v_and_or_b32 v0, 0x1ff, v1, v0
	v_mov_b32_e32 v14, v2
	v_lshrrev_b32_e32 v19, 8, v1
	v_bfe_u32 v20, v1, 20, 11
	v_cmp_ne_u32_e64 s0, v3, v21
	v_mul_f16_sdwa v3, v54, v17 dst_sel:DWORD dst_unused:UNUSED_PAD src0_sel:WORD_1 src1_sel:DWORD
	v_lshl_or_b32 v23, v4, 16, v10
	v_cndmask_b32_e64 v2, 0, 1, s0
	v_cmp_ne_u32_e64 s0, 0, v0
	v_fmac_f16_e32 v3, v54, v15
	v_or_b32_e32 v2, v5, v2
	v_cndmask_b32_e64 v0, 0, 1, s0
	v_lshl_or_b32 v5, v18, 12, v6
	v_cmp_gt_i32_e64 s0, 1, v18
	v_and_or_b32 v0, 0xffe, v19, v0
	v_sub_nc_u32_e32 v19, 0x3f1, v20
	v_cndmask_b32_e64 v21, v5, v2, s0
	v_cvt_f32_f16_e32 v5, v3
	v_lshlrev_b64 v[2:3], 2, v[11:12]
	v_or_b32_e32 v22, 0x1000, v0
	v_med3_i32 v19, v19, 0, 13
	v_and_b32_e32 v12, 7, v21
	v_cvt_f64_f32_e32 v[4:5], v5
	v_lshlrev_b64 v[10:11], 2, v[13:14]
	v_add_co_u32 v2, s0, s6, v2
	v_lshrrev_b32_e32 v24, v19, v22
	v_add_co_ci_u32_e64 v3, s0, s7, v3, s0
	v_cmp_lt_i32_e64 s0, 5, v12
	v_cmp_eq_u32_e64 s1, 3, v12
	v_lshlrev_b32_e32 v13, v19, v24
	v_mul_f16_sdwa v12, v54, v15 dst_sel:DWORD dst_unused:UNUSED_PAD src0_sel:WORD_1 src1_sel:DWORD
	v_lshrrev_b32_e32 v14, 2, v21
	v_add_nc_u32_e32 v15, 0xfffffc10, v20
	s_or_b32 s0, s1, s0
	v_cmp_ne_u32_e64 s2, v13, v22
	v_fma_f16 v12, v54, v17, -v12
	v_add_co_ci_u32_e64 v14, s0, 0, v14, s0
	v_cmp_ne_u32_e64 s0, 0, v6
	v_cndmask_b32_e64 v13, 0, 1, s2
	v_cvt_f32_f16_e32 v12, v12
	v_lshl_or_b32 v19, v15, 12, v0
	v_mul_f64 v[4:5], v[4:5], s[4:5]
	v_cndmask_b32_e64 v6, 0, 1, s0
	v_or_b32_e32 v17, v24, v13
	v_cmp_gt_i32_e64 s0, 1, v15
	v_cvt_f64_f32_e32 v[12:13], v12
	v_cmp_eq_u32_e64 s2, 0x40f, v18
	v_lshl_or_b32 v6, v6, 9, 0x7c00
	v_cndmask_b32_e64 v17, v19, v17, s0
	v_add_co_u32 v10, s0, v2, v10
	v_add_co_ci_u32_e64 v11, s0, v3, v11, s0
	v_cmp_gt_i32_e64 s0, 31, v18
	v_and_b32_e32 v19, 7, v17
	global_store_dword v[10:11], v23, off
	v_cndmask_b32_e64 v14, 0x7c00, v14, s0
	v_cmp_lt_i32_e64 s0, 5, v19
	v_cmp_eq_u32_e64 s1, 3, v19
	v_and_or_b32 v4, 0x1ff, v5, v4
	v_cndmask_b32_e64 v14, v14, v6, s2
	v_lshrrev_b32_e32 v6, 2, v17
	s_or_b32 s0, s1, s0
	v_lshrrev_b32_e32 v17, 16, v7
	v_bfe_u32 v19, v5, 20, 11
	s_mul_i32 s1, s9, 15
	v_add_co_ci_u32_e64 v18, s0, 0, v6, s0
	v_mul_f64 v[6:7], v[12:13], s[4:5]
	v_cmp_ne_u32_e64 s0, 0, v4
	v_lshrrev_b32_e32 v12, 8, v5
	v_lshrrev_b32_e32 v13, 16, v16
	v_sub_nc_u32_e32 v20, 0x3f1, v19
	v_and_or_b32 v14, 0x8000, v17, v14
	v_cndmask_b32_e64 v4, 0, 1, s0
	v_cmp_ne_u32_e64 s0, 0, v0
	v_add_nc_u32_e32 v19, 0xfffffc10, v19
	v_med3_i32 v20, v20, 0, 13
	v_and_b32_e32 v14, 0xffff, v14
	v_and_or_b32 v4, 0xffe, v12, v4
	v_cndmask_b32_e64 v0, 0, 1, s0
	v_mul_f16_sdwa v12, v52, v13 dst_sel:DWORD dst_unused:UNUSED_PAD src0_sel:WORD_1 src1_sel:DWORD
	v_cmp_gt_i32_e64 s0, 31, v15
	s_mul_hi_u32 s2, s8, 15
	v_or_b32_e32 v21, 0x1000, v4
	v_lshl_or_b32 v0, v0, 9, 0x7c00
	v_fmac_f16_e32 v12, v52, v16
	v_cndmask_b32_e64 v18, 0x7c00, v18, s0
	v_cmp_eq_u32_e64 s0, 0x40f, v15
	v_lshrrev_b32_e32 v17, v20, v21
	v_and_or_b32 v6, 0x1ff, v7, v6
	v_mul_f16_sdwa v16, v52, v16 dst_sel:DWORD dst_unused:UNUSED_PAD src0_sel:WORD_1 src1_sel:DWORD
	s_add_i32 s1, s2, s1
	v_cndmask_b32_e64 v15, v18, v0, s0
	v_cvt_f32_f16_e32 v0, v12
	v_lshrrev_b32_e32 v12, 16, v1
	v_cmp_ne_u32_e64 s0, 0, v6
	v_lshrrev_b32_e32 v18, 8, v7
	v_lshrrev_b32_e32 v5, 16, v5
	v_cvt_f64_f32_e32 v[0:1], v0
	v_and_or_b32 v12, 0x8000, v12, v15
	v_lshlrev_b32_e32 v15, v20, v17
	v_cndmask_b32_e64 v6, 0, 1, s0
	v_bfe_u32 v20, v7, 20, 11
	v_lshl_or_b32 v23, v12, 16, v14
	v_cmp_ne_u32_e64 s0, v15, v21
	v_and_or_b32 v6, 0xffe, v18, v6
	v_sub_nc_u32_e32 v18, 0x3f1, v20
	v_fma_f16 v12, v52, v13, -v16
	v_add_nc_u32_e32 v16, 0xfffffc10, v20
	v_cndmask_b32_e64 v15, 0, 1, s0
	v_cmp_gt_i32_e64 s0, 1, v19
	v_or_b32_e32 v21, 0x1000, v6
	v_med3_i32 v18, v18, 0, 13
	v_cvt_f32_f16_e32 v12, v12
	v_or_b32_e32 v15, v17, v15
	v_lshl_or_b32 v17, v19, 12, v4
	v_mul_f64 v[0:1], v[0:1], s[4:5]
	v_cndmask_b32_e64 v15, v17, v15, s0
	v_lshrrev_b32_e32 v17, v18, v21
	s_mul_i32 s0, s8, 15
	s_lshl_b64 s[6:7], s[0:1], 2
	v_and_b32_e32 v22, 7, v15
	v_lshlrev_b32_e32 v13, v18, v17
	v_lshrrev_b32_e32 v14, 2, v15
	v_cmp_lt_i32_e64 s0, 5, v22
	v_cmp_eq_u32_e64 s1, 3, v22
	v_cmp_ne_u32_e64 s2, v13, v21
	v_cvt_f64_f32_e32 v[12:13], v12
	s_or_b32 s0, s1, s0
	v_cndmask_b32_e64 v15, 0, 1, s2
	v_add_co_ci_u32_e64 v18, s0, 0, v14, s0
	v_cmp_ne_u32_e64 s0, 0, v4
	v_and_or_b32 v0, 0x1ff, v1, v0
	v_or_b32_e32 v14, v17, v15
	v_lshl_or_b32 v15, v16, 12, v6
	v_lshrrev_b32_e32 v20, 8, v1
	v_cndmask_b32_e64 v4, 0, 1, s0
	v_cmp_gt_i32_e64 s0, 1, v16
	v_bfe_u32 v21, v1, 20, 11
	v_lshl_or_b32 v4, v4, 9, 0x7c00
	v_cndmask_b32_e64 v17, v15, v14, s0
	v_cmp_ne_u32_e64 s0, 0, v0
	ds_read2_b32 v[14:15], v42 offset0:60 offset1:75
	v_mul_f64 v[12:13], v[12:13], s[4:5]
	v_and_b32_e32 v22, 7, v17
	v_cndmask_b32_e64 v0, 0, 1, s0
	v_cmp_gt_i32_e64 s0, 31, v19
	v_cmp_eq_u32_e64 s1, 3, v22
	v_and_or_b32 v0, 0xffe, v20, v0
	v_cndmask_b32_e64 v18, 0x7c00, v18, s0
	v_cmp_eq_u32_e64 s0, 0x40f, v19
	v_sub_nc_u32_e32 v20, 0x3f1, v21
	v_cndmask_b32_e64 v4, v18, v4, s0
	v_cmp_lt_i32_e64 s0, 5, v22
	v_med3_i32 v19, v20, 0, 13
	v_or_b32_e32 v18, 0x1000, v0
	v_and_or_b32 v20, 0x8000, v5, v4
	v_lshrrev_b32_e32 v4, 2, v17
	s_or_b32 s0, s1, s0
	v_lshrrev_b32_e32 v22, v19, v18
	s_waitcnt lgkmcnt(0)
	v_lshrrev_b32_e32 v17, 16, v14
	v_bfe_u32 v25, v13, 20, 11
	v_add_co_ci_u32_e64 v4, s0, 0, v4, s0
	v_cmp_ne_u32_e64 s0, 0, v6
	v_lshlrev_b32_e32 v19, v19, v22
	v_mul_f16_sdwa v5, v51, v17 dst_sel:DWORD dst_unused:UNUSED_PAD src0_sel:WORD_1 src1_sel:DWORD
	v_cndmask_b32_e64 v6, 0, 1, s0
	v_cmp_gt_i32_e64 s0, 31, v16
	v_fmac_f16_e32 v5, v51, v14
	v_mul_f16_sdwa v14, v51, v14 dst_sel:DWORD dst_unused:UNUSED_PAD src0_sel:WORD_1 src1_sel:DWORD
	v_lshl_or_b32 v6, v6, 9, 0x7c00
	v_cndmask_b32_e64 v24, 0x7c00, v4, s0
	v_and_or_b32 v4, 0x1ff, v13, v12
	v_cmp_ne_u32_e64 s0, v19, v18
	v_cvt_f32_f16_e32 v5, v5
	v_add_nc_u32_e32 v18, 0xfffffc10, v21
	v_lshrrev_b32_e32 v21, 8, v13
	v_lshrrev_b32_e32 v13, 16, v13
	v_cndmask_b32_e64 v12, 0, 1, s0
	v_cmp_ne_u32_e64 s0, 0, v4
	v_cvt_f64_f32_e32 v[4:5], v5
	v_cndmask_b32_e64 v19, 0, 1, s0
	v_cmp_eq_u32_e64 s0, 0x40f, v16
	v_and_or_b32 v19, 0xffe, v21, v19
	v_sub_nc_u32_e32 v21, 0x3f1, v25
	v_cndmask_b32_e64 v16, v24, v6, s0
	v_or_b32_e32 v6, v22, v12
	v_lshl_or_b32 v12, v18, 12, v0
	v_cmp_gt_i32_e64 s0, 1, v18
	v_or_b32_e32 v24, 0x1000, v19
	v_med3_i32 v21, v21, 0, 13
	v_lshrrev_b32_e32 v22, 16, v7
	v_cndmask_b32_e64 v12, v12, v6, s0
	v_add_co_u32 v6, s0, v10, s6
	v_add_co_ci_u32_e64 v7, s0, s7, v11, s0
	v_lshrrev_b32_e32 v11, v21, v24
	v_and_or_b32 v10, 0x8000, v22, v16
	v_and_b32_e32 v16, 0xffff, v20
	v_and_b32_e32 v20, 7, v12
	v_mul_f64 v[4:5], v[4:5], s[4:5]
	v_lshlrev_b32_e32 v21, v21, v11
	v_lshrrev_b32_e32 v12, 2, v12
	v_lshl_or_b32 v22, v10, 16, v16
	v_fma_f16 v10, v51, v17, -v14
	v_cmp_lt_i32_e64 s0, 5, v20
	v_cmp_ne_u32_e64 s1, v21, v24
	v_add_nc_u32_e32 v16, 0xfffffc10, v25
	global_store_dword v[6:7], v23, off
	v_cvt_f32_f16_e32 v10, v10
	v_cndmask_b32_e64 v14, 0, 1, s1
	v_cmp_eq_u32_e64 s1, 3, v20
	v_lshl_or_b32 v17, v16, 12, v19
	v_or_b32_e32 v14, v11, v14
	s_or_b32 s0, s1, s0
	v_cvt_f64_f32_e32 v[10:11], v10
	v_add_co_ci_u32_e64 v12, s0, 0, v12, s0
	v_cmp_ne_u32_e64 s0, 0, v0
	v_and_or_b32 v4, 0x1ff, v5, v4
	v_lshrrev_b32_e32 v20, 8, v5
	v_bfe_u32 v21, v5, 20, 11
	v_cndmask_b32_e64 v0, 0, 1, s0
	v_cmp_gt_i32_e64 s0, 1, v16
	v_lshl_or_b32 v0, v0, 9, 0x7c00
	v_cndmask_b32_e64 v14, v17, v14, s0
	v_cmp_gt_i32_e64 s0, 31, v18
	v_and_b32_e32 v17, 7, v14
	v_cndmask_b32_e64 v12, 0x7c00, v12, s0
	v_cmp_ne_u32_e64 s0, 0, v4
	v_cmp_eq_u32_e64 s1, 3, v17
	v_cndmask_b32_e64 v4, 0, 1, s0
	v_cmp_eq_u32_e64 s0, 0x40f, v18
	v_lshrrev_b32_e32 v18, 16, v1
	v_and_or_b32 v4, 0xffe, v20, v4
	v_cndmask_b32_e64 v12, v12, v0, s0
	v_cmp_lt_i32_e64 s0, 5, v17
	v_mul_f64 v[0:1], v[10:11], s[4:5]
	v_lshrrev_b32_e32 v10, 2, v14
	v_sub_nc_u32_e32 v20, 0x3f1, v21
	v_or_b32_e32 v11, 0x1000, v4
	s_or_b32 s0, s1, s0
	v_lshrrev_b32_e32 v17, 16, v15
	v_add_co_ci_u32_e64 v10, s0, 0, v10, s0
	v_med3_i32 v14, v20, 0, 13
	v_cmp_ne_u32_e64 s0, 0, v19
	v_mul_f16_sdwa v23, v50, v17 dst_sel:DWORD dst_unused:UNUSED_PAD src0_sel:WORD_1 src1_sel:DWORD
	v_and_or_b32 v12, 0x8000, v18, v12
	v_add_nc_u32_e32 v18, 0xfffffc10, v21
	v_lshrrev_b32_e32 v20, v14, v11
	v_cndmask_b32_e64 v19, 0, 1, s0
	v_cmp_gt_i32_e64 s0, 31, v16
	v_fmac_f16_e32 v23, v50, v15
	v_and_b32_e32 v12, 0xffff, v12
	v_lshlrev_b32_e32 v14, v14, v20
	v_lshl_or_b32 v19, v19, 9, 0x7c00
	v_cndmask_b32_e64 v10, 0x7c00, v10, s0
	v_cmp_eq_u32_e64 s0, 0x40f, v16
	v_and_or_b32 v0, 0x1ff, v1, v0
	v_bfe_u32 v21, v1, 20, 11
	v_mul_f16_sdwa v15, v50, v15 dst_sel:DWORD dst_unused:UNUSED_PAD src0_sel:WORD_1 src1_sel:DWORD
	v_cndmask_b32_e64 v16, v10, v19, s0
	v_cmp_ne_u32_e64 s0, v14, v11
	v_cvt_f32_f16_e32 v10, v23
	v_lshrrev_b32_e32 v19, 8, v1
	v_fma_f16 v15, v50, v17, -v15
	v_and_or_b32 v13, 0x8000, v13, v16
	v_cndmask_b32_e64 v14, 0, 1, s0
	v_cmp_ne_u32_e64 s0, 0, v0
	v_cvt_f64_f32_e32 v[10:11], v10
	v_lshl_or_b32 v16, v18, 12, v4
	v_cvt_f32_f16_e32 v15, v15
	v_or_b32_e32 v14, v20, v14
	v_cndmask_b32_e64 v0, 0, 1, s0
	v_cmp_gt_i32_e64 s0, 1, v18
	v_lshl_or_b32 v20, v13, 16, v12
	v_and_or_b32 v0, 0xffe, v19, v0
	v_sub_nc_u32_e32 v19, 0x3f1, v21
	v_cndmask_b32_e64 v14, v16, v14, s0
	v_add_co_u32 v6, s0, v6, s6
	v_or_b32_e32 v16, 0x1000, v0
	v_med3_i32 v19, v19, 0, 13
	v_add_co_ci_u32_e64 v7, s0, s7, v7, s0
	v_and_b32_e32 v23, 7, v14
	v_add_co_u32 v12, s0, v6, s6
	v_lshrrev_b32_e32 v24, v19, v16
	v_mul_f64 v[10:11], v[10:11], s[4:5]
	v_add_co_ci_u32_e64 v13, s0, s7, v7, s0
	v_cmp_lt_i32_e64 s0, 5, v23
	v_lshlrev_b32_e32 v19, v19, v24
	v_cmp_eq_u32_e64 s1, 3, v23
	v_lshrrev_b32_e32 v14, 2, v14
	v_cmp_ne_u32_e64 s2, v19, v16
	s_or_b32 s0, s1, s0
	v_add_nc_u32_e32 v19, 0xfffffc10, v21
	v_add_co_ci_u32_e64 v21, s0, 0, v14, s0
	v_cndmask_b32_e64 v16, 0, 1, s2
	v_cmp_ne_u32_e64 s0, 0, v4
	v_cvt_f64_f32_e32 v[14:15], v15
	v_or_b32_e32 v23, v24, v16
	v_lshl_or_b32 v24, v19, 12, v0
	v_cndmask_b32_e64 v4, 0, 1, s0
	v_cmp_gt_i32_e64 s0, 1, v19
	v_and_or_b32 v10, 0x1ff, v11, v10
	ds_read2_b32 v[16:17], v42 offset0:90 offset1:105
	v_lshrrev_b32_e32 v25, 8, v11
	v_lshl_or_b32 v4, v4, 9, 0x7c00
	v_cndmask_b32_e64 v23, v24, v23, s0
	v_cmp_gt_i32_e64 s0, 31, v18
	v_bfe_u32 v26, v11, 20, 11
	global_store_dword v[6:7], v22, off
	global_store_dword v[12:13], v20, off
	v_lshrrev_b32_e32 v11, 16, v11
	v_and_b32_e32 v24, 7, v23
	v_cndmask_b32_e64 v21, 0x7c00, v21, s0
	v_cmp_ne_u32_e64 s0, 0, v10
	v_cmp_eq_u32_e64 s1, 3, v24
	v_cndmask_b32_e64 v10, 0, 1, s0
	v_cmp_eq_u32_e64 s0, 0x40f, v18
	v_and_or_b32 v10, 0xffe, v25, v10
	v_cndmask_b32_e64 v18, v21, v4, s0
	v_cmp_lt_i32_e64 s0, 5, v24
	v_lshrrev_b32_e32 v21, 16, v5
	v_mul_f64 v[4:5], v[14:15], s[4:5]
	v_lshrrev_b32_e32 v15, 2, v23
	v_sub_nc_u32_e32 v25, 0x3f1, v26
	s_or_b32 s0, s1, s0
	v_or_b32_e32 v23, 0x1000, v10
	s_waitcnt lgkmcnt(0)
	v_lshrrev_b32_e32 v14, 16, v16
	v_add_co_ci_u32_e64 v15, s0, 0, v15, s0
	v_med3_i32 v24, v25, 0, 13
	v_cmp_ne_u32_e64 s0, 0, v0
	v_mul_f16_sdwa v25, v49, v14 dst_sel:DWORD dst_unused:UNUSED_PAD src0_sel:WORD_1 src1_sel:DWORD
	v_and_or_b32 v18, 0x8000, v21, v18
	v_lshrrev_b32_e32 v27, v24, v23
	v_cndmask_b32_e64 v0, 0, 1, s0
	v_cmp_gt_i32_e64 s0, 31, v19
	v_fmac_f16_e32 v25, v49, v16
	v_and_b32_e32 v18, 0xffff, v18
	v_lshlrev_b32_e32 v21, v24, v27
	v_lshl_or_b32 v0, v0, 9, 0x7c00
	v_cndmask_b32_e64 v15, 0x7c00, v15, s0
	v_cmp_eq_u32_e64 s0, 0x40f, v19
	v_and_or_b32 v4, 0x1ff, v5, v4
	v_cvt_f32_f16_e32 v24, v25
	v_lshrrev_b32_e32 v19, 16, v1
	v_bfe_u32 v25, v5, 20, 11
	v_cndmask_b32_e64 v15, v15, v0, s0
	v_cmp_ne_u32_e64 s0, v21, v23
	v_cvt_f64_f32_e32 v[0:1], v24
	v_add_nc_u32_e32 v23, 0xfffffc10, v26
	v_lshrrev_b32_e32 v24, 8, v5
	v_and_or_b32 v15, 0x8000, v19, v15
	v_cndmask_b32_e64 v21, 0, 1, s0
	v_cmp_ne_u32_e64 s0, 0, v4
	v_lshl_or_b32 v15, v15, 16, v18
	v_or_b32_e32 v19, v27, v21
	v_cndmask_b32_e64 v4, 0, 1, s0
	v_lshl_or_b32 v21, v23, 12, v10
	v_cmp_gt_i32_e64 s0, 1, v23
	v_and_or_b32 v4, 0xffe, v24, v4
	v_sub_nc_u32_e32 v24, 0x3f1, v25
	v_cndmask_b32_e64 v19, v21, v19, s0
	v_add_co_u32 v6, s0, v12, s6
	v_or_b32_e32 v21, 0x1000, v4
	v_med3_i32 v24, v24, 0, 13
	v_and_b32_e32 v18, 7, v19
	v_mul_f64 v[0:1], v[0:1], s[4:5]
	v_add_co_ci_u32_e64 v7, s0, s7, v13, s0
	v_lshrrev_b32_e32 v20, v24, v21
	v_cmp_lt_i32_e64 s0, 5, v18
	v_cmp_eq_u32_e64 s1, 3, v18
	v_mul_f16_sdwa v13, v49, v16 dst_sel:DWORD dst_unused:UNUSED_PAD src0_sel:WORD_1 src1_sel:DWORD
	v_lshrrev_b32_e32 v16, 2, v19
	v_lshlrev_b32_e32 v12, v24, v20
	global_store_dword v[6:7], v15, off
	s_or_b32 s0, s1, s0
	v_fma_f16 v13, v49, v14, -v13
	v_add_co_ci_u32_e64 v16, s0, 0, v16, s0
	v_cmp_ne_u32_e64 s2, v12, v21
	v_add_nc_u32_e32 v14, 0xfffffc10, v25
	v_cmp_ne_u32_e64 s0, 0, v10
	v_cvt_f32_f16_e32 v13, v13
	v_cndmask_b32_e64 v12, 0, 1, s2
	v_lshl_or_b32 v19, v14, 12, v4
	v_cndmask_b32_e64 v10, 0, 1, s0
	v_cmp_gt_i32_e64 s0, 1, v14
	v_and_or_b32 v0, 0x1ff, v1, v0
	v_or_b32_e32 v18, v20, v12
	v_cvt_f64_f32_e32 v[12:13], v13
	v_lshl_or_b32 v10, v10, 9, 0x7c00
	v_lshrrev_b32_e32 v20, 8, v1
	v_bfe_u32 v21, v1, 20, 11
	v_cndmask_b32_e64 v18, v19, v18, s0
	v_cmp_gt_i32_e64 s0, 31, v23
	v_and_b32_e32 v19, 7, v18
	v_cndmask_b32_e64 v16, 0x7c00, v16, s0
	v_cmp_ne_u32_e64 s0, 0, v0
	v_lshrrev_b32_e32 v18, 2, v18
	v_cmp_eq_u32_e64 s1, 3, v19
	v_cndmask_b32_e64 v0, 0, 1, s0
	v_cmp_eq_u32_e64 s0, 0x40f, v23
	v_and_or_b32 v0, 0xffe, v20, v0
	v_cndmask_b32_e64 v10, v16, v10, s0
	v_cmp_lt_i32_e64 s0, 5, v19
	v_lshrrev_b32_e32 v19, 16, v17
	v_mul_f64 v[12:13], v[12:13], s[4:5]
	v_sub_nc_u32_e32 v16, 0x3f1, v21
	v_or_b32_e32 v20, 0x1000, v0
	s_or_b32 s0, s1, s0
	v_mul_f16_sdwa v22, v48, v19 dst_sel:DWORD dst_unused:UNUSED_PAD src0_sel:WORD_1 src1_sel:DWORD
	v_add_co_ci_u32_e64 v18, s0, 0, v18, s0
	v_cmp_ne_u32_e64 s0, 0, v4
	v_med3_i32 v16, v16, 0, 13
	v_fmac_f16_e32 v22, v48, v17
	v_and_or_b32 v10, 0x8000, v11, v10
	v_mul_f16_sdwa v17, v48, v17 dst_sel:DWORD dst_unused:UNUSED_PAD src0_sel:WORD_1 src1_sel:DWORD
	v_cndmask_b32_e64 v4, 0, 1, s0
	v_cmp_gt_i32_e64 s0, 31, v14
	v_lshrrev_b32_e32 v23, v16, v20
	v_cvt_f32_f16_e32 v22, v22
	v_and_b32_e32 v10, 0xffff, v10
	v_lshl_or_b32 v4, v4, 9, 0x7c00
	v_cndmask_b32_e64 v18, 0x7c00, v18, s0
	v_cmp_eq_u32_e64 s0, 0x40f, v14
	v_lshlrev_b32_e32 v16, v16, v23
	v_and_or_b32 v12, 0x1ff, v13, v12
	v_cndmask_b32_e64 v14, v18, v4, s0
	v_lshrrev_b32_e32 v18, 16, v5
	v_cvt_f64_f32_e32 v[4:5], v22
	v_cmp_ne_u32_e64 s0, v16, v20
	v_add_nc_u32_e32 v20, 0xfffffc10, v21
	v_bfe_u32 v21, v13, 20, 11
	v_and_or_b32 v11, 0x8000, v18, v14
	v_lshrrev_b32_e32 v18, 8, v13
	v_cndmask_b32_e64 v16, 0, 1, s0
	v_cmp_ne_u32_e64 s0, 0, v12
	v_sub_nc_u32_e32 v15, 0x3f1, v21
	v_lshl_or_b32 v10, v11, 16, v10
	v_lshrrev_b32_e32 v13, 16, v13
	v_or_b32_e32 v14, v23, v16
	v_cndmask_b32_e64 v12, 0, 1, s0
	v_lshl_or_b32 v16, v20, 12, v0
	v_cmp_gt_i32_e64 s0, 1, v20
	v_med3_i32 v15, v15, 0, 13
	v_and_or_b32 v12, 0xffe, v18, v12
	v_cndmask_b32_e64 v14, v16, v14, s0
	v_add_co_u32 v6, s0, v6, s6
	v_mul_f64 v[4:5], v[4:5], s[4:5]
	v_or_b32_e32 v16, 0x1000, v12
	v_and_b32_e32 v11, 7, v14
	v_add_co_ci_u32_e64 v7, s0, s7, v7, s0
	v_lshrrev_b32_e32 v18, v15, v16
	v_cmp_lt_i32_e64 s0, 5, v11
	v_cmp_eq_u32_e64 s1, 3, v11
	global_store_dword v[6:7], v10, off
	v_lshrrev_b32_e32 v10, 2, v14
	v_lshlrev_b32_e32 v14, v15, v18
	v_fma_f16 v15, v48, v19, -v17
	s_or_b32 s0, s1, s0
	v_add_nc_u32_e32 v19, 0xfffffc10, v21
	v_add_co_ci_u32_e64 v17, s0, 0, v10, s0
	v_cmp_ne_u32_e64 s0, v14, v16
	ds_read2_b32 v[10:11], v42 offset0:120 offset1:135
	v_cvt_f32_f16_e32 v14, v15
	v_cndmask_b32_e64 v16, 0, 1, s0
	v_and_or_b32 v4, 0x1ff, v5, v4
	v_cmp_gt_i32_e64 s0, 31, v20
	v_cvt_f64_f32_e32 v[14:15], v14
	v_lshrrev_b32_e32 v21, 8, v5
	v_or_b32_e32 v16, v18, v16
	v_lshl_or_b32 v18, v19, 12, v12
	v_cndmask_b32_e64 v17, 0x7c00, v17, s0
	v_cmp_ne_u32_e64 s0, 0, v4
	v_bfe_u32 v22, v5, 20, 11
	v_cndmask_b32_e64 v4, 0, 1, s0
	v_cmp_ne_u32_e64 s0, 0, v0
	v_and_or_b32 v4, 0xffe, v21, v4
	v_cndmask_b32_e64 v0, 0, 1, s0
	v_cmp_gt_i32_e64 s0, 1, v19
	s_waitcnt lgkmcnt(0)
	v_lshrrev_b32_e32 v21, 16, v10
	v_or_b32_e32 v24, 0x1000, v4
	v_lshl_or_b32 v0, v0, 9, 0x7c00
	v_cndmask_b32_e64 v16, v18, v16, s0
	v_sub_nc_u32_e32 v18, 0x3f1, v22
	v_cmp_eq_u32_e64 s0, 0x40f, v20
	v_mul_f16_sdwa v25, v47, v21 dst_sel:DWORD dst_unused:UNUSED_PAD src0_sel:WORD_1 src1_sel:DWORD
	v_mul_f64 v[14:15], v[14:15], s[4:5]
	v_and_b32_e32 v23, 7, v16
	v_med3_i32 v18, v18, 0, 13
	v_cndmask_b32_e64 v17, v17, v0, s0
	v_lshrrev_b32_e32 v0, 2, v16
	v_fmac_f16_e32 v25, v47, v10
	v_cmp_lt_i32_e64 s0, 5, v23
	v_cmp_eq_u32_e64 s1, 3, v23
	v_lshrrev_b32_e32 v20, v18, v24
	v_lshrrev_b32_e32 v23, 16, v1
	v_cvt_f32_f16_e32 v1, v25
	v_add_nc_u32_e32 v22, 0xfffffc10, v22
	s_or_b32 s0, s1, s0
	v_lshlrev_b32_e32 v16, v18, v20
	v_add_co_ci_u32_e64 v18, s0, 0, v0, s0
	v_cmp_ne_u32_e64 s0, 0, v12
	v_cvt_f64_f32_e32 v[0:1], v1
	v_and_or_b32 v17, 0x8000, v23, v17
	v_mul_f16_sdwa v10, v47, v10 dst_sel:DWORD dst_unused:UNUSED_PAD src0_sel:WORD_1 src1_sel:DWORD
	v_lshrrev_b32_e32 v25, 16, v11
	v_cndmask_b32_e64 v12, 0, 1, s0
	v_cmp_ne_u32_e64 s0, v16, v24
	v_and_or_b32 v14, 0x1ff, v15, v14
	v_and_b32_e32 v17, 0xffff, v17
	v_fma_f16 v10, v47, v21, -v10
	v_lshl_or_b32 v12, v12, 9, 0x7c00
	v_cndmask_b32_e64 v16, 0, 1, s0
	v_cmp_gt_i32_e64 s0, 31, v19
	v_cvt_f32_f16_e32 v10, v10
	v_or_b32_e32 v16, v20, v16
	v_cndmask_b32_e64 v18, 0x7c00, v18, s0
	v_cmp_eq_u32_e64 s0, 0x40f, v19
	v_lshl_or_b32 v20, v22, 12, v4
	v_bfe_u32 v19, v15, 20, 11
	v_cndmask_b32_e64 v12, v18, v12, s0
	v_cmp_gt_i32_e64 s0, 1, v22
	v_lshrrev_b32_e32 v18, 8, v15
	v_mul_f64 v[0:1], v[0:1], s[4:5]
	v_lshrrev_b32_e32 v15, 16, v15
	v_and_or_b32 v12, 0x8000, v13, v12
	v_cndmask_b32_e64 v16, v20, v16, s0
	v_cmp_ne_u32_e64 s0, 0, v14
	v_lshl_or_b32 v17, v12, 16, v17
	v_and_b32_e32 v20, 7, v16
	v_cndmask_b32_e64 v14, 0, 1, s0
	v_lshrrev_b32_e32 v16, 2, v16
	v_cmp_lt_i32_e64 s0, 5, v20
	v_and_or_b32 v14, 0xffe, v18, v14
	v_sub_nc_u32_e32 v18, 0x3f1, v19
	v_cmp_eq_u32_e64 s1, 3, v20
	v_or_b32_e32 v13, 0x1000, v14
	v_med3_i32 v18, v18, 0, 13
	s_or_b32 s0, s1, s0
	v_and_or_b32 v0, 0x1ff, v1, v0
	v_add_co_ci_u32_e64 v16, s0, 0, v16, s0
	v_lshrrev_b32_e32 v20, v18, v13
	v_cmp_gt_i32_e64 s0, 31, v22
	v_bfe_u32 v21, v1, 20, 11
	v_lshlrev_b32_e32 v12, v18, v20
	v_cndmask_b32_e64 v16, 0x7c00, v16, s0
	v_cmp_ne_u32_e64 s0, v12, v13
	v_cvt_f64_f32_e32 v[12:13], v10
	v_add_nc_u32_e32 v10, 0xfffffc10, v19
	v_lshrrev_b32_e32 v19, 8, v1
	v_lshrrev_b32_e32 v1, 16, v1
	v_cndmask_b32_e64 v18, 0, 1, s0
	v_cmp_ne_u32_e64 s0, 0, v0
	v_or_b32_e32 v18, v20, v18
	v_cndmask_b32_e64 v0, 0, 1, s0
	v_cmp_ne_u32_e64 s0, 0, v4
	v_lshl_or_b32 v20, v10, 12, v14
	v_and_or_b32 v0, 0xffe, v19, v0
	v_cndmask_b32_e64 v4, 0, 1, s0
	v_cmp_gt_i32_e64 s0, 1, v10
	v_sub_nc_u32_e32 v19, 0x3f1, v21
	v_lshl_or_b32 v4, v4, 9, 0x7c00
	v_cndmask_b32_e64 v18, v20, v18, s0
	v_cmp_eq_u32_e64 s0, 0x40f, v22
	v_or_b32_e32 v20, 0x1000, v0
	v_med3_i32 v19, v19, 0, 13
	v_lshrrev_b32_e32 v22, 16, v5
	v_and_b32_e32 v23, 7, v18
	v_cndmask_b32_e64 v16, v16, v4, s0
	v_mul_f64 v[4:5], v[12:13], s[4:5]
	v_lshrrev_b32_e32 v24, v19, v20
	v_add_co_u32 v6, s0, v6, s6
	v_add_co_ci_u32_e64 v7, s0, s7, v7, s0
	v_lshlrev_b32_e32 v13, v19, v24
	v_mul_f16_sdwa v12, v46, v25 dst_sel:DWORD dst_unused:UNUSED_PAD src0_sel:WORD_1 src1_sel:DWORD
	v_cmp_lt_i32_e64 s0, 5, v23
	v_cmp_eq_u32_e64 s1, 3, v23
	v_lshrrev_b32_e32 v18, 2, v18
	v_cmp_ne_u32_e64 s2, v13, v20
	v_fmac_f16_e32 v12, v46, v11
	v_add_nc_u32_e32 v19, 0xfffffc10, v21
	s_or_b32 s0, s1, s0
	v_and_or_b32 v16, 0x8000, v22, v16
	v_add_co_ci_u32_e64 v18, s0, 0, v18, s0
	v_cndmask_b32_e64 v13, 0, 1, s2
	v_cmp_ne_u32_e64 s0, 0, v14
	v_cvt_f32_f16_e32 v12, v12
	v_lshl_or_b32 v21, v19, 12, v0
	v_and_or_b32 v4, 0x1ff, v5, v4
	v_or_b32_e32 v20, v24, v13
	v_cndmask_b32_e64 v14, 0, 1, s0
	v_cmp_gt_i32_e64 s0, 1, v19
	v_cvt_f64_f32_e32 v[12:13], v12
	v_bfe_u32 v22, v5, 20, 11
	v_and_b32_e32 v16, 0xffff, v16
	v_lshl_or_b32 v14, v14, 9, 0x7c00
	v_cndmask_b32_e64 v20, v21, v20, s0
	v_cmp_ne_u32_e64 s0, 0, v4
	v_lshrrev_b32_e32 v21, 8, v5
	v_mul_f16_sdwa v11, v46, v11 dst_sel:DWORD dst_unused:UNUSED_PAD src0_sel:WORD_1 src1_sel:DWORD
	v_and_b32_e32 v23, 7, v20
	v_cndmask_b32_e64 v4, 0, 1, s0
	v_cmp_gt_i32_e64 s0, 31, v10
	v_fma_f16 v11, v46, v25, -v11
	v_cmp_eq_u32_e64 s1, 3, v23
	v_and_or_b32 v4, 0xffe, v21, v4
	v_cndmask_b32_e64 v18, 0x7c00, v18, s0
	v_cmp_eq_u32_e64 s0, 0x40f, v10
	ds_read_b32 v21, v42 offset:600
	v_cndmask_b32_e64 v10, v18, v14, s0
	v_sub_nc_u32_e32 v14, 0x3f1, v22
	v_cmp_lt_i32_e64 s0, 5, v23
	v_mul_f64 v[12:13], v[12:13], s[4:5]
	v_or_b32_e32 v18, 0x1000, v4
	v_and_or_b32 v10, 0x8000, v15, v10
	v_lshrrev_b32_e32 v15, 2, v20
	v_med3_i32 v14, v14, 0, 13
	s_or_b32 s0, s1, s0
	v_lshl_or_b32 v16, v10, 16, v16
	v_add_co_ci_u32_e64 v15, s0, 0, v15, s0
	v_lshrrev_b32_e32 v20, v14, v18
	v_cmp_ne_u32_e64 s0, 0, v0
	v_lshlrev_b32_e32 v10, v14, v20
	v_cndmask_b32_e64 v0, 0, 1, s0
	v_cmp_gt_i32_e64 s0, 31, v19
	v_lshl_or_b32 v0, v0, 9, 0x7c00
	v_cndmask_b32_e64 v14, 0x7c00, v15, s0
	v_cmp_ne_u32_e64 s0, v10, v18
	v_and_or_b32 v12, 0x1ff, v13, v12
	v_add_nc_u32_e32 v18, 0xfffffc10, v22
	v_cndmask_b32_e64 v10, 0, 1, s0
	v_cmp_eq_u32_e64 s0, 0x40f, v19
	v_lshl_or_b32 v15, v18, 12, v4
	v_lshrrev_b32_e32 v19, 8, v13
	v_cndmask_b32_e64 v0, v14, v0, s0
	v_cmp_ne_u32_e64 s0, 0, v12
	v_or_b32_e32 v14, v20, v10
	v_cvt_f32_f16_e32 v10, v11
	v_bfe_u32 v20, v13, 20, 11
	v_and_or_b32 v27, 0x8000, v1, v0
	v_cndmask_b32_e64 v12, 0, 1, s0
	v_cmp_gt_i32_e64 s0, 1, v18
	v_cvt_f64_f32_e32 v[10:11], v10
	v_lshrrev_b32_e32 v13, 16, v13
	v_and_or_b32 v12, 0xffe, v19, v12
	v_cndmask_b32_e64 v22, v15, v14, s0
	v_sub_nc_u32_e32 v14, 0x3f1, v20
	s_waitcnt lgkmcnt(0)
	v_lshrrev_b32_e32 v19, 16, v21
	v_add_nc_u32_e32 v20, 0xfffffc10, v20
	v_or_b32_e32 v24, 0x1000, v12
	v_and_b32_e32 v23, 7, v22
	v_med3_i32 v25, v14, 0, 13
	v_mul_f16_sdwa v26, v45, v19 dst_sel:DWORD dst_unused:UNUSED_PAD src0_sel:WORD_1 src1_sel:DWORD
	v_add_co_u32 v14, s0, v6, s6
	v_add_co_ci_u32_e64 v15, s0, s7, v7, s0
	v_lshrrev_b32_e32 v28, v25, v24
	v_fmac_f16_e32 v26, v45, v21
	v_cmp_lt_i32_e64 s0, 5, v23
	v_cmp_eq_u32_e64 s1, 3, v23
	v_lshrrev_b32_e32 v22, 2, v22
	v_lshlrev_b32_e32 v23, v25, v28
	v_cvt_f32_f16_e32 v25, v26
	v_mul_f64 v[0:1], v[10:11], s[4:5]
	s_or_b32 s0, s1, s0
	v_mul_f16_sdwa v21, v45, v21 dst_sel:DWORD dst_unused:UNUSED_PAD src0_sel:WORD_1 src1_sel:DWORD
	v_add_co_ci_u32_e64 v22, s0, 0, v22, s0
	v_cmp_ne_u32_e64 s0, v23, v24
	v_cvt_f64_f32_e32 v[10:11], v25
	v_lshl_or_b32 v24, v20, 12, v12
	v_fma_f16 v19, v45, v19, -v21
	v_cndmask_b32_e64 v23, 0, 1, s0
	v_cmp_ne_u32_e64 s0, 0, v4
	v_cvt_f32_f16_e32 v19, v19
	v_or_b32_e32 v23, v28, v23
	v_cndmask_b32_e64 v4, 0, 1, s0
	v_cmp_gt_i32_e64 s0, 31, v18
	v_lshl_or_b32 v4, v4, 9, 0x7c00
	v_cndmask_b32_e64 v21, 0x7c00, v22, s0
	v_cmp_gt_i32_e64 s0, 1, v20
	v_and_or_b32 v0, 0x1ff, v1, v0
	v_cndmask_b32_e64 v22, v24, v23, s0
	v_cmp_eq_u32_e64 s0, 0x40f, v18
	v_mul_f64 v[10:11], v[10:11], s[4:5]
	v_lshrrev_b32_e32 v23, 8, v1
	v_bfe_u32 v24, v1, 20, 11
	v_lshrrev_b32_e32 v1, 16, v1
	v_cndmask_b32_e64 v18, v21, v4, s0
	v_lshrrev_b32_e32 v21, 16, v5
	v_cvt_f64_f32_e32 v[4:5], v19
	v_cmp_ne_u32_e64 s0, 0, v0
	v_and_b32_e32 v19, 7, v22
	v_and_or_b32 v18, 0x8000, v21, v18
	v_and_b32_e32 v21, 0xffff, v27
	v_cndmask_b32_e64 v0, 0, 1, s0
	v_cmp_lt_i32_e64 s0, 5, v19
	v_cmp_eq_u32_e64 s1, 3, v19
	v_lshrrev_b32_e32 v19, 2, v22
	v_lshl_or_b32 v18, v18, 16, v21
	v_and_or_b32 v0, 0xffe, v23, v0
	v_sub_nc_u32_e32 v23, 0x3f1, v24
	s_or_b32 s0, s1, s0
	v_add_co_ci_u32_e64 v19, s0, 0, v19, s0
	v_or_b32_e32 v21, 0x1000, v0
	v_med3_i32 v22, v23, 0, 13
	v_cmp_ne_u32_e64 s0, 0, v12
	v_and_or_b32 v10, 0x1ff, v11, v10
	v_lshrrev_b32_e32 v25, 8, v11
	v_mul_f64 v[4:5], v[4:5], s[4:5]
	v_lshrrev_b32_e32 v23, v22, v21
	v_cndmask_b32_e64 v12, 0, 1, s0
	v_cmp_gt_i32_e64 s0, 31, v20
	v_bfe_u32 v26, v11, 20, 11
	v_lshrrev_b32_e32 v11, 16, v11
	v_lshlrev_b32_e32 v22, v22, v23
	v_lshl_or_b32 v12, v12, 9, 0x7c00
	v_cndmask_b32_e64 v19, 0x7c00, v19, s0
	v_cmp_ne_u32_e64 s0, 0, v10
	v_cndmask_b32_e64 v10, 0, 1, s0
	v_cmp_ne_u32_e64 s0, v22, v21
	v_add_nc_u32_e32 v22, 0xfffffc10, v24
	v_sub_nc_u32_e32 v24, 0x3f1, v26
	v_and_or_b32 v10, 0xffe, v25, v10
	v_cndmask_b32_e64 v21, 0, 1, s0
	v_cmp_eq_u32_e64 s0, 0x40f, v20
	v_lshl_or_b32 v20, v22, 12, v0
	v_and_or_b32 v4, 0x1ff, v5, v4
	v_bfe_u32 v25, v5, 20, 11
	v_cndmask_b32_e64 v12, v19, v12, s0
	v_or_b32_e32 v19, v23, v21
	v_or_b32_e32 v21, 0x1000, v10
	v_med3_i32 v23, v24, 0, 13
	v_cmp_gt_i32_e64 s0, 1, v22
	v_lshrrev_b32_e32 v24, 8, v5
	v_and_or_b32 v12, 0x8000, v13, v12
	v_sub_nc_u32_e32 v13, 0x3f1, v25
	v_cndmask_b32_e64 v19, v20, v19, s0
	v_lshrrev_b32_e32 v20, v23, v21
	v_cmp_ne_u32_e64 s0, 0, v4
	v_med3_i32 v13, v13, 0, 13
	v_and_b32_e32 v27, 7, v19
	v_lshlrev_b32_e32 v23, v23, v20
	v_cndmask_b32_e64 v4, 0, 1, s0
	v_lshrrev_b32_e32 v19, 2, v19
	v_cmp_lt_i32_e64 s0, 5, v27
	v_cmp_ne_u32_e64 s1, v23, v21
	v_and_or_b32 v4, 0xffe, v24, v4
	v_add_nc_u32_e32 v24, 0xfffffc10, v26
	v_cndmask_b32_e64 v21, 0, 1, s1
	v_cmp_eq_u32_e64 s1, 3, v27
	v_or_b32_e32 v23, 0x1000, v4
	v_lshl_or_b32 v26, v24, 12, v10
	v_or_b32_e32 v20, v20, v21
	s_or_b32 s0, s1, s0
	v_lshrrev_b32_e32 v21, v13, v23
	v_add_co_ci_u32_e64 v19, s0, 0, v19, s0
	v_cmp_gt_i32_e64 s0, 1, v24
	v_lshlrev_b32_e32 v13, v13, v21
	v_cndmask_b32_e64 v20, v26, v20, s0
	v_cmp_ne_u32_e64 s0, 0, v0
	v_cndmask_b32_e64 v0, 0, 1, s0
	v_cmp_ne_u32_e64 s0, v13, v23
	v_add_nc_u32_e32 v23, 0xfffffc10, v25
	v_and_b32_e32 v25, 7, v20
	v_lshl_or_b32 v0, v0, 9, 0x7c00
	v_cndmask_b32_e64 v13, 0, 1, s0
	v_cmp_gt_i32_e64 s0, 31, v22
	v_cmp_gt_i32_e64 s2, 1, v23
	v_cmp_eq_u32_e64 s1, 3, v25
	v_or_b32_e32 v13, v21, v13
	v_lshl_or_b32 v21, v23, 12, v4
	v_cndmask_b32_e64 v19, 0x7c00, v19, s0
	v_cmp_lt_i32_e64 s0, 5, v25
	v_cndmask_b32_e64 v13, v21, v13, s2
	v_cmp_eq_u32_e64 s2, 0x40f, v22
	s_or_b32 s0, s1, s0
	v_cndmask_b32_e64 v0, v19, v0, s2
	v_lshrrev_b32_e32 v19, 2, v20
	v_and_b32_e32 v20, 7, v13
	v_lshrrev_b32_e32 v13, 2, v13
	v_cmp_gt_i32_e64 s2, 31, v24
	v_and_or_b32 v0, 0x8000, v1, v0
	v_add_co_ci_u32_e64 v19, s0, 0, v19, s0
	v_cmp_ne_u32_e64 s0, 0, v10
	v_cmp_eq_u32_e64 s1, 3, v20
	v_and_b32_e32 v1, 0xffff, v12
	v_cndmask_b32_e64 v19, 0x7c00, v19, s2
	v_lshrrev_b32_e32 v12, 16, v5
	v_cndmask_b32_e64 v10, 0, 1, s0
	v_cmp_lt_i32_e64 s0, 5, v20
	v_lshl_or_b32 v10, v10, 9, 0x7c00
	s_or_b32 s0, s1, s0
	v_add_co_ci_u32_e64 v13, s0, 0, v13, s0
	v_cmp_ne_u32_e64 s0, 0, v4
	v_cndmask_b32_e64 v4, 0, 1, s0
	v_cmp_eq_u32_e64 s0, 0x40f, v24
	v_lshl_or_b32 v4, v4, 9, 0x7c00
	v_cndmask_b32_e64 v10, v19, v10, s0
	v_cmp_gt_i32_e64 s0, 31, v23
	v_and_or_b32 v10, 0x8000, v11, v10
	v_cndmask_b32_e64 v13, 0x7c00, v13, s0
	v_cmp_eq_u32_e64 s0, 0x40f, v23
	v_cndmask_b32_e64 v11, v13, v4, s0
	v_add_co_u32 v4, s0, v14, s6
	v_add_co_ci_u32_e64 v5, s0, s7, v15, s0
	v_lshl_or_b32 v13, v0, 16, v1
	v_and_or_b32 v0, 0x8000, v12, v11
	v_and_b32_e32 v1, 0xffff, v10
	v_add_co_u32 v10, s0, v4, s6
	v_add_co_ci_u32_e64 v11, s0, s7, v5, s0
	v_lshl_or_b32 v12, v0, 16, v1
	v_add_co_u32 v0, s0, v10, s6
	v_add_co_ci_u32_e64 v1, s0, s7, v11, s0
	global_store_dword v[6:7], v17, off
	global_store_dword v[14:15], v16, off
	;; [unrolled: 1-line block ×5, first 2 shown]
	s_and_b32 exec_lo, exec_lo, vcc_lo
	s_cbranch_execz .LBB0_15
; %bb.14:
	global_load_dword v4, v[8:9], off offset:44
	ds_read_b32 v5, v58 offset:44
	v_mad_u64_u32 v[0:1], null, 0xfffffdd4, s8, v[0:1]
	s_mul_i32 s3, s9, 0x78
	s_waitcnt lgkmcnt(0)
	v_lshrrev_b32_e32 v6, 16, v5
	s_waitcnt vmcnt(0)
	v_mul_f16_sdwa v7, v6, v4 dst_sel:DWORD dst_unused:UNUSED_PAD src0_sel:DWORD src1_sel:WORD_1
	v_mul_f16_sdwa v10, v5, v4 dst_sel:DWORD dst_unused:UNUSED_PAD src0_sel:DWORD src1_sel:WORD_1
	v_fmac_f16_e32 v7, v5, v4
	v_fma_f16 v4, v4, v6, -v10
	v_cvt_f32_f16_e32 v5, v7
	v_cvt_f32_f16_e32 v6, v4
	v_cvt_f64_f32_e32 v[4:5], v5
	v_cvt_f64_f32_e32 v[6:7], v6
	v_mul_f64 v[4:5], v[4:5], s[4:5]
	v_mul_f64 v[6:7], v[6:7], s[4:5]
	v_and_or_b32 v4, 0x1ff, v5, v4
	v_and_or_b32 v6, 0x1ff, v7, v6
	v_lshrrev_b32_e32 v10, 8, v5
	v_bfe_u32 v11, v5, 20, 11
	v_lshrrev_b32_e32 v12, 8, v7
	v_cmp_ne_u32_e32 vcc_lo, 0, v4
	v_bfe_u32 v13, v7, 20, 11
	v_lshrrev_b32_e32 v5, 16, v5
	v_sub_nc_u32_e32 v14, 0x3f1, v11
	v_add_nc_u32_e32 v11, 0xfffffc10, v11
	v_cndmask_b32_e64 v4, 0, 1, vcc_lo
	v_cmp_ne_u32_e32 vcc_lo, 0, v6
	v_lshrrev_b32_e32 v7, 16, v7
	v_and_or_b32 v4, 0xffe, v10, v4
	v_cndmask_b32_e64 v6, 0, 1, vcc_lo
	v_sub_nc_u32_e32 v10, 0x3f1, v13
	v_add_nc_u32_e32 v13, 0xfffffc10, v13
	v_and_or_b32 v6, 0xffe, v12, v6
	v_med3_i32 v12, v14, 0, 13
	v_or_b32_e32 v14, 0x1000, v4
	v_med3_i32 v10, v10, 0, 13
	v_or_b32_e32 v15, 0x1000, v6
	v_lshrrev_b32_e32 v16, v12, v14
	v_lshrrev_b32_e32 v17, v10, v15
	v_lshlrev_b32_e32 v12, v12, v16
	v_lshlrev_b32_e32 v10, v10, v17
	v_cmp_ne_u32_e32 vcc_lo, v12, v14
	v_lshl_or_b32 v14, v11, 12, v4
	v_cndmask_b32_e64 v12, 0, 1, vcc_lo
	v_cmp_ne_u32_e32 vcc_lo, v10, v15
	v_lshl_or_b32 v15, v13, 12, v6
	v_or_b32_e32 v12, v16, v12
	v_cndmask_b32_e64 v10, 0, 1, vcc_lo
	v_cmp_gt_i32_e32 vcc_lo, 1, v11
	v_or_b32_e32 v10, v17, v10
	v_cndmask_b32_e32 v12, v14, v12, vcc_lo
	v_cmp_gt_i32_e32 vcc_lo, 1, v13
	v_and_b32_e32 v14, 7, v12
	v_cndmask_b32_e32 v10, v15, v10, vcc_lo
	v_cmp_ne_u32_e32 vcc_lo, 0, v4
	v_lshrrev_b32_e32 v12, 2, v12
	v_cmp_eq_u32_e64 s0, 3, v14
	v_and_b32_e32 v15, 7, v10
	v_cndmask_b32_e64 v4, 0, 1, vcc_lo
	v_cmp_ne_u32_e32 vcc_lo, 0, v6
	v_lshrrev_b32_e32 v10, 2, v10
	v_cmp_lt_i32_e64 s1, 5, v15
	v_cmp_eq_u32_e64 s2, 3, v15
	v_cndmask_b32_e64 v6, 0, 1, vcc_lo
	v_cmp_lt_i32_e32 vcc_lo, 5, v14
	v_lshl_or_b32 v4, v4, 9, 0x7c00
	v_lshl_or_b32 v6, v6, 9, 0x7c00
	s_or_b32 vcc_lo, s0, vcc_lo
	s_mul_i32 s0, s9, 0xfffffdd4
	v_add_co_ci_u32_e32 v12, vcc_lo, 0, v12, vcc_lo
	s_or_b32 vcc_lo, s2, s1
	s_sub_i32 s0, s0, s8
	v_add_co_ci_u32_e32 v10, vcc_lo, 0, v10, vcc_lo
	v_cmp_gt_i32_e32 vcc_lo, 31, v11
	v_add_nc_u32_e32 v1, s0, v1
	v_cndmask_b32_e32 v12, 0x7c00, v12, vcc_lo
	v_cmp_gt_i32_e32 vcc_lo, 31, v13
	v_cndmask_b32_e32 v10, 0x7c00, v10, vcc_lo
	v_cmp_eq_u32_e32 vcc_lo, 0x40f, v11
	v_cndmask_b32_e32 v4, v12, v4, vcc_lo
	v_cmp_eq_u32_e32 vcc_lo, 0x40f, v13
	v_and_or_b32 v4, 0x8000, v5, v4
	v_cndmask_b32_e32 v6, v10, v6, vcc_lo
	v_and_b32_e32 v4, 0xffff, v4
	v_and_or_b32 v5, 0x8000, v7, v6
	v_lshl_or_b32 v4, v5, 16, v4
	global_store_dword v[0:1], v4, off
	global_load_dword v6, v[8:9], off offset:104
	ds_read2_b32 v[4:5], v42 offset0:26 offset1:41
	s_waitcnt lgkmcnt(0)
	v_lshrrev_b32_e32 v7, 16, v4
	s_waitcnt vmcnt(0)
	v_mul_f16_sdwa v10, v7, v6 dst_sel:DWORD dst_unused:UNUSED_PAD src0_sel:DWORD src1_sel:WORD_1
	v_mul_f16_sdwa v11, v4, v6 dst_sel:DWORD dst_unused:UNUSED_PAD src0_sel:DWORD src1_sel:WORD_1
	v_fmac_f16_e32 v10, v4, v6
	v_fma_f16 v4, v6, v7, -v11
	v_cvt_f32_f16_e32 v6, v10
	v_cvt_f32_f16_e32 v4, v4
	v_cvt_f64_f32_e32 v[6:7], v6
	v_cvt_f64_f32_e32 v[10:11], v4
	v_mul_f64 v[6:7], v[6:7], s[4:5]
	v_mul_f64 v[10:11], v[10:11], s[4:5]
	v_and_or_b32 v4, 0x1ff, v7, v6
	v_and_or_b32 v10, 0x1ff, v11, v10
	v_lshrrev_b32_e32 v6, 8, v7
	v_bfe_u32 v12, v7, 20, 11
	v_lshrrev_b32_e32 v13, 8, v11
	v_cmp_ne_u32_e32 vcc_lo, 0, v4
	v_bfe_u32 v14, v11, 20, 11
	v_lshrrev_b32_e32 v7, 16, v7
	v_sub_nc_u32_e32 v15, 0x3f1, v12
	v_add_nc_u32_e32 v12, 0xfffffc10, v12
	v_cndmask_b32_e64 v4, 0, 1, vcc_lo
	v_cmp_ne_u32_e32 vcc_lo, 0, v10
	v_lshrrev_b32_e32 v11, 16, v11
	v_and_or_b32 v4, 0xffe, v6, v4
	v_cndmask_b32_e64 v10, 0, 1, vcc_lo
	v_sub_nc_u32_e32 v6, 0x3f1, v14
	v_add_nc_u32_e32 v14, 0xfffffc10, v14
	v_and_or_b32 v10, 0xffe, v13, v10
	v_med3_i32 v13, v15, 0, 13
	v_or_b32_e32 v15, 0x1000, v4
	v_med3_i32 v6, v6, 0, 13
	v_or_b32_e32 v16, 0x1000, v10
	v_lshrrev_b32_e32 v17, v13, v15
	v_lshrrev_b32_e32 v18, v6, v16
	v_lshlrev_b32_e32 v13, v13, v17
	v_lshlrev_b32_e32 v6, v6, v18
	v_cmp_ne_u32_e32 vcc_lo, v13, v15
	v_lshl_or_b32 v15, v12, 12, v4
	v_cndmask_b32_e64 v13, 0, 1, vcc_lo
	v_cmp_ne_u32_e32 vcc_lo, v6, v16
	v_lshl_or_b32 v16, v14, 12, v10
	v_or_b32_e32 v13, v17, v13
	v_cndmask_b32_e64 v6, 0, 1, vcc_lo
	v_cmp_gt_i32_e32 vcc_lo, 1, v12
	v_or_b32_e32 v6, v18, v6
	v_cndmask_b32_e32 v13, v15, v13, vcc_lo
	v_cmp_gt_i32_e32 vcc_lo, 1, v14
	v_and_b32_e32 v15, 7, v13
	v_cndmask_b32_e32 v6, v16, v6, vcc_lo
	v_cmp_ne_u32_e32 vcc_lo, 0, v4
	v_lshrrev_b32_e32 v13, 2, v13
	v_cmp_eq_u32_e64 s0, 3, v15
	v_and_b32_e32 v16, 7, v6
	v_cndmask_b32_e64 v4, 0, 1, vcc_lo
	v_cmp_ne_u32_e32 vcc_lo, 0, v10
	v_lshrrev_b32_e32 v6, 2, v6
	v_cmp_lt_i32_e64 s1, 5, v16
	v_cmp_eq_u32_e64 s2, 3, v16
	v_cndmask_b32_e64 v10, 0, 1, vcc_lo
	v_cmp_lt_i32_e32 vcc_lo, 5, v15
	v_lshl_or_b32 v4, v4, 9, 0x7c00
	v_lshl_or_b32 v10, v10, 9, 0x7c00
	s_or_b32 vcc_lo, s0, vcc_lo
	v_add_co_ci_u32_e32 v13, vcc_lo, 0, v13, vcc_lo
	s_or_b32 vcc_lo, s2, s1
	v_add_co_ci_u32_e32 v6, vcc_lo, 0, v6, vcc_lo
	v_cmp_gt_i32_e32 vcc_lo, 31, v12
	v_cndmask_b32_e32 v13, 0x7c00, v13, vcc_lo
	v_cmp_gt_i32_e32 vcc_lo, 31, v14
	v_cndmask_b32_e32 v6, 0x7c00, v6, vcc_lo
	v_cmp_eq_u32_e32 vcc_lo, 0x40f, v12
	v_cndmask_b32_e32 v4, v13, v4, vcc_lo
	v_cmp_eq_u32_e32 vcc_lo, 0x40f, v14
	v_and_or_b32 v4, 0x8000, v7, v4
	v_cndmask_b32_e32 v6, v6, v10, vcc_lo
	v_add_co_u32 v0, vcc_lo, v0, s6
	v_add_co_ci_u32_e32 v1, vcc_lo, s7, v1, vcc_lo
	v_and_or_b32 v6, 0x8000, v11, v6
	v_and_b32_e32 v4, 0xffff, v4
	v_lshl_or_b32 v4, v6, 16, v4
	v_lshrrev_b32_e32 v6, 16, v5
	global_store_dword v[0:1], v4, off
	global_load_dword v4, v[8:9], off offset:164
	s_waitcnt vmcnt(0)
	v_mul_f16_sdwa v7, v6, v4 dst_sel:DWORD dst_unused:UNUSED_PAD src0_sel:DWORD src1_sel:WORD_1
	v_mul_f16_sdwa v10, v5, v4 dst_sel:DWORD dst_unused:UNUSED_PAD src0_sel:DWORD src1_sel:WORD_1
	v_fmac_f16_e32 v7, v5, v4
	v_fma_f16 v4, v4, v6, -v10
	v_cvt_f32_f16_e32 v5, v7
	v_cvt_f32_f16_e32 v6, v4
	v_cvt_f64_f32_e32 v[4:5], v5
	v_cvt_f64_f32_e32 v[6:7], v6
	v_mul_f64 v[4:5], v[4:5], s[4:5]
	v_mul_f64 v[6:7], v[6:7], s[4:5]
	v_and_or_b32 v4, 0x1ff, v5, v4
	v_and_or_b32 v6, 0x1ff, v7, v6
	v_lshrrev_b32_e32 v10, 8, v5
	v_bfe_u32 v11, v5, 20, 11
	v_lshrrev_b32_e32 v12, 8, v7
	v_cmp_ne_u32_e32 vcc_lo, 0, v4
	v_bfe_u32 v13, v7, 20, 11
	v_lshrrev_b32_e32 v5, 16, v5
	v_sub_nc_u32_e32 v14, 0x3f1, v11
	v_add_nc_u32_e32 v11, 0xfffffc10, v11
	v_cndmask_b32_e64 v4, 0, 1, vcc_lo
	v_cmp_ne_u32_e32 vcc_lo, 0, v6
	v_lshrrev_b32_e32 v7, 16, v7
	v_and_or_b32 v4, 0xffe, v10, v4
	v_cndmask_b32_e64 v6, 0, 1, vcc_lo
	v_sub_nc_u32_e32 v10, 0x3f1, v13
	v_add_nc_u32_e32 v13, 0xfffffc10, v13
	v_and_or_b32 v6, 0xffe, v12, v6
	v_med3_i32 v12, v14, 0, 13
	v_or_b32_e32 v14, 0x1000, v4
	v_med3_i32 v10, v10, 0, 13
	v_or_b32_e32 v15, 0x1000, v6
	v_lshrrev_b32_e32 v16, v12, v14
	v_lshrrev_b32_e32 v17, v10, v15
	v_lshlrev_b32_e32 v12, v12, v16
	v_lshlrev_b32_e32 v10, v10, v17
	v_cmp_ne_u32_e32 vcc_lo, v12, v14
	v_lshl_or_b32 v14, v11, 12, v4
	v_cndmask_b32_e64 v12, 0, 1, vcc_lo
	v_cmp_ne_u32_e32 vcc_lo, v10, v15
	v_lshl_or_b32 v15, v13, 12, v6
	v_or_b32_e32 v12, v16, v12
	v_cndmask_b32_e64 v10, 0, 1, vcc_lo
	v_cmp_gt_i32_e32 vcc_lo, 1, v11
	v_or_b32_e32 v10, v17, v10
	v_cndmask_b32_e32 v12, v14, v12, vcc_lo
	v_cmp_gt_i32_e32 vcc_lo, 1, v13
	v_and_b32_e32 v14, 7, v12
	v_cndmask_b32_e32 v10, v15, v10, vcc_lo
	v_cmp_ne_u32_e32 vcc_lo, 0, v4
	v_lshrrev_b32_e32 v12, 2, v12
	v_cmp_eq_u32_e64 s0, 3, v14
	v_and_b32_e32 v15, 7, v10
	v_cndmask_b32_e64 v4, 0, 1, vcc_lo
	v_cmp_ne_u32_e32 vcc_lo, 0, v6
	v_lshrrev_b32_e32 v10, 2, v10
	v_cmp_lt_i32_e64 s1, 5, v15
	v_cmp_eq_u32_e64 s2, 3, v15
	v_cndmask_b32_e64 v6, 0, 1, vcc_lo
	v_cmp_lt_i32_e32 vcc_lo, 5, v14
	v_lshl_or_b32 v4, v4, 9, 0x7c00
	v_lshl_or_b32 v6, v6, 9, 0x7c00
	s_or_b32 vcc_lo, s0, vcc_lo
	v_add_co_ci_u32_e32 v12, vcc_lo, 0, v12, vcc_lo
	s_or_b32 vcc_lo, s2, s1
	v_add_co_ci_u32_e32 v10, vcc_lo, 0, v10, vcc_lo
	v_cmp_gt_i32_e32 vcc_lo, 31, v11
	v_cndmask_b32_e32 v12, 0x7c00, v12, vcc_lo
	v_cmp_gt_i32_e32 vcc_lo, 31, v13
	v_cndmask_b32_e32 v10, 0x7c00, v10, vcc_lo
	v_cmp_eq_u32_e32 vcc_lo, 0x40f, v11
	v_cndmask_b32_e32 v4, v12, v4, vcc_lo
	v_cmp_eq_u32_e32 vcc_lo, 0x40f, v13
	v_and_or_b32 v4, 0x8000, v5, v4
	v_cndmask_b32_e32 v6, v10, v6, vcc_lo
	v_add_co_u32 v0, vcc_lo, v0, s6
	v_add_co_ci_u32_e32 v1, vcc_lo, s7, v1, vcc_lo
	v_and_or_b32 v5, 0x8000, v7, v6
	v_and_b32_e32 v4, 0xffff, v4
	v_lshl_or_b32 v4, v5, 16, v4
	global_store_dword v[0:1], v4, off
	global_load_dword v6, v[8:9], off offset:224
	ds_read2_b32 v[4:5], v42 offset0:56 offset1:71
	v_mad_u64_u32 v[0:1], null, 0x78, s8, v[0:1]
	v_add_nc_u32_e32 v1, s3, v1
	s_waitcnt lgkmcnt(0)
	v_lshrrev_b32_e32 v7, 16, v4
	s_waitcnt vmcnt(0)
	v_mul_f16_sdwa v10, v7, v6 dst_sel:DWORD dst_unused:UNUSED_PAD src0_sel:DWORD src1_sel:WORD_1
	v_mul_f16_sdwa v11, v4, v6 dst_sel:DWORD dst_unused:UNUSED_PAD src0_sel:DWORD src1_sel:WORD_1
	v_fmac_f16_e32 v10, v4, v6
	v_fma_f16 v4, v6, v7, -v11
	v_cvt_f32_f16_e32 v6, v10
	v_cvt_f32_f16_e32 v4, v4
	v_cvt_f64_f32_e32 v[6:7], v6
	v_cvt_f64_f32_e32 v[10:11], v4
	v_mul_f64 v[6:7], v[6:7], s[4:5]
	v_mul_f64 v[10:11], v[10:11], s[4:5]
	v_and_or_b32 v4, 0x1ff, v7, v6
	v_and_or_b32 v10, 0x1ff, v11, v10
	v_lshrrev_b32_e32 v6, 8, v7
	v_bfe_u32 v14, v7, 20, 11
	v_lshrrev_b32_e32 v12, 8, v11
	v_cmp_ne_u32_e32 vcc_lo, 0, v4
	v_bfe_u32 v15, v11, 20, 11
	v_lshrrev_b32_e32 v7, 16, v7
	v_sub_nc_u32_e32 v13, 0x3f1, v14
	v_lshrrev_b32_e32 v11, 16, v11
	v_cndmask_b32_e64 v4, 0, 1, vcc_lo
	v_cmp_ne_u32_e32 vcc_lo, 0, v10
	v_sub_nc_u32_e32 v16, 0x3f1, v15
	v_add_nc_u32_e32 v15, 0xfffffc10, v15
	v_and_or_b32 v6, 0xffe, v6, v4
	v_cndmask_b32_e64 v10, 0, 1, vcc_lo
	v_med3_i32 v4, v13, 0, 13
	v_med3_i32 v16, v16, 0, 13
	v_or_b32_e32 v17, 0x1000, v6
	v_and_or_b32 v10, 0xffe, v12, v10
	v_mad_u64_u32 v[12:13], null, s8, v44, 0
	v_lshrrev_b32_e32 v19, v4, v17
	v_or_b32_e32 v18, 0x1000, v10
	v_lshlrev_b32_e32 v21, v4, v19
	v_lshrrev_b32_e32 v20, v16, v18
	v_mov_b32_e32 v4, v13
	v_cmp_ne_u32_e32 vcc_lo, v21, v17
	v_lshlrev_b32_e32 v13, v16, v20
	v_add_nc_u32_e32 v16, 0xfffffc10, v14
	v_cndmask_b32_e64 v17, 0, 1, vcc_lo
	v_cmp_ne_u32_e32 vcc_lo, v13, v18
	v_mad_u64_u32 v[13:14], null, s9, v44, v[4:5]
	v_lshl_or_b32 v4, v16, 12, v6
	v_or_b32_e32 v14, v19, v17
	v_cndmask_b32_e64 v18, 0, 1, vcc_lo
	v_cmp_gt_i32_e32 vcc_lo, 1, v16
	v_lshl_or_b32 v17, v15, 12, v10
	v_or_b32_e32 v18, v20, v18
	v_cndmask_b32_e32 v4, v4, v14, vcc_lo
	v_cmp_gt_i32_e32 vcc_lo, 1, v15
	v_cndmask_b32_e32 v14, v17, v18, vcc_lo
	v_cmp_ne_u32_e32 vcc_lo, 0, v6
	v_and_b32_e32 v17, 7, v4
	v_lshrrev_b32_e32 v4, 2, v4
	v_and_b32_e32 v18, 7, v14
	v_cndmask_b32_e64 v6, 0, 1, vcc_lo
	v_cmp_ne_u32_e32 vcc_lo, 0, v10
	v_cmp_eq_u32_e64 s0, 3, v17
	v_lshrrev_b32_e32 v14, 2, v14
	v_cmp_lt_i32_e64 s1, 5, v18
	v_cmp_eq_u32_e64 s2, 3, v18
	v_cndmask_b32_e64 v10, 0, 1, vcc_lo
	v_cmp_lt_i32_e32 vcc_lo, 5, v17
	v_lshl_or_b32 v6, v6, 9, 0x7c00
	v_lshl_or_b32 v10, v10, 9, 0x7c00
	s_or_b32 vcc_lo, s0, vcc_lo
	v_add_co_ci_u32_e32 v4, vcc_lo, 0, v4, vcc_lo
	s_or_b32 vcc_lo, s2, s1
	v_add_co_ci_u32_e32 v14, vcc_lo, 0, v14, vcc_lo
	v_cmp_gt_i32_e32 vcc_lo, 31, v16
	v_cndmask_b32_e32 v4, 0x7c00, v4, vcc_lo
	v_cmp_gt_i32_e32 vcc_lo, 31, v15
	v_cndmask_b32_e32 v14, 0x7c00, v14, vcc_lo
	v_cmp_eq_u32_e32 vcc_lo, 0x40f, v16
	v_cndmask_b32_e32 v4, v4, v6, vcc_lo
	v_cmp_eq_u32_e32 vcc_lo, 0x40f, v15
	v_and_or_b32 v4, 0x8000, v7, v4
	v_cndmask_b32_e32 v10, v14, v10, vcc_lo
	v_lshlrev_b64 v[6:7], 2, v[12:13]
	v_and_b32_e32 v4, 0xffff, v4
	v_and_or_b32 v10, 0x8000, v11, v10
	v_add_co_u32 v6, vcc_lo, v2, v6
	v_add_co_ci_u32_e32 v7, vcc_lo, v3, v7, vcc_lo
	v_lshl_or_b32 v4, v10, 16, v4
	global_store_dword v[6:7], v4, off
	global_load_dword v4, v[8:9], off offset:284
	v_lshrrev_b32_e32 v6, 16, v5
	s_waitcnt vmcnt(0)
	v_mul_f16_sdwa v7, v6, v4 dst_sel:DWORD dst_unused:UNUSED_PAD src0_sel:DWORD src1_sel:WORD_1
	v_mul_f16_sdwa v10, v5, v4 dst_sel:DWORD dst_unused:UNUSED_PAD src0_sel:DWORD src1_sel:WORD_1
	v_fmac_f16_e32 v7, v5, v4
	v_fma_f16 v4, v4, v6, -v10
	v_cvt_f32_f16_e32 v5, v7
	v_cvt_f32_f16_e32 v6, v4
	v_cvt_f64_f32_e32 v[4:5], v5
	v_cvt_f64_f32_e32 v[6:7], v6
	v_mul_f64 v[4:5], v[4:5], s[4:5]
	v_mul_f64 v[6:7], v[6:7], s[4:5]
	v_and_or_b32 v4, 0x1ff, v5, v4
	v_and_or_b32 v6, 0x1ff, v7, v6
	v_lshrrev_b32_e32 v10, 8, v5
	v_bfe_u32 v11, v5, 20, 11
	v_lshrrev_b32_e32 v12, 8, v7
	v_cmp_ne_u32_e32 vcc_lo, 0, v4
	v_bfe_u32 v13, v7, 20, 11
	v_lshrrev_b32_e32 v5, 16, v5
	v_sub_nc_u32_e32 v14, 0x3f1, v11
	v_add_nc_u32_e32 v11, 0xfffffc10, v11
	v_cndmask_b32_e64 v4, 0, 1, vcc_lo
	v_cmp_ne_u32_e32 vcc_lo, 0, v6
	v_lshrrev_b32_e32 v7, 16, v7
	v_and_or_b32 v4, 0xffe, v10, v4
	v_cndmask_b32_e64 v6, 0, 1, vcc_lo
	v_sub_nc_u32_e32 v10, 0x3f1, v13
	v_add_nc_u32_e32 v13, 0xfffffc10, v13
	v_and_or_b32 v6, 0xffe, v12, v6
	v_med3_i32 v12, v14, 0, 13
	v_or_b32_e32 v14, 0x1000, v4
	v_med3_i32 v10, v10, 0, 13
	v_or_b32_e32 v15, 0x1000, v6
	v_lshrrev_b32_e32 v16, v12, v14
	v_lshrrev_b32_e32 v17, v10, v15
	v_lshlrev_b32_e32 v12, v12, v16
	v_lshlrev_b32_e32 v10, v10, v17
	v_cmp_ne_u32_e32 vcc_lo, v12, v14
	v_lshl_or_b32 v14, v11, 12, v4
	v_cndmask_b32_e64 v12, 0, 1, vcc_lo
	v_cmp_ne_u32_e32 vcc_lo, v10, v15
	v_lshl_or_b32 v15, v13, 12, v6
	v_or_b32_e32 v12, v16, v12
	v_cndmask_b32_e64 v10, 0, 1, vcc_lo
	v_cmp_gt_i32_e32 vcc_lo, 1, v11
	v_or_b32_e32 v10, v17, v10
	v_cndmask_b32_e32 v12, v14, v12, vcc_lo
	v_cmp_gt_i32_e32 vcc_lo, 1, v13
	v_and_b32_e32 v14, 7, v12
	v_cndmask_b32_e32 v10, v15, v10, vcc_lo
	v_cmp_ne_u32_e32 vcc_lo, 0, v4
	v_lshrrev_b32_e32 v12, 2, v12
	v_cmp_eq_u32_e64 s0, 3, v14
	v_and_b32_e32 v15, 7, v10
	v_cndmask_b32_e64 v4, 0, 1, vcc_lo
	v_cmp_ne_u32_e32 vcc_lo, 0, v6
	v_lshrrev_b32_e32 v10, 2, v10
	v_cmp_lt_i32_e64 s1, 5, v15
	v_cmp_eq_u32_e64 s2, 3, v15
	v_cndmask_b32_e64 v6, 0, 1, vcc_lo
	v_cmp_lt_i32_e32 vcc_lo, 5, v14
	v_lshl_or_b32 v4, v4, 9, 0x7c00
	v_lshl_or_b32 v6, v6, 9, 0x7c00
	s_or_b32 vcc_lo, s0, vcc_lo
	v_add_co_ci_u32_e32 v12, vcc_lo, 0, v12, vcc_lo
	s_or_b32 vcc_lo, s2, s1
	v_add_co_ci_u32_e32 v10, vcc_lo, 0, v10, vcc_lo
	v_cmp_gt_i32_e32 vcc_lo, 31, v11
	v_cndmask_b32_e32 v12, 0x7c00, v12, vcc_lo
	v_cmp_gt_i32_e32 vcc_lo, 31, v13
	v_cndmask_b32_e32 v10, 0x7c00, v10, vcc_lo
	v_cmp_eq_u32_e32 vcc_lo, 0x40f, v11
	v_cndmask_b32_e32 v4, v12, v4, vcc_lo
	v_cmp_eq_u32_e32 vcc_lo, 0x40f, v13
	v_and_or_b32 v4, 0x8000, v5, v4
	v_cndmask_b32_e32 v6, v10, v6, vcc_lo
	v_and_b32_e32 v4, 0xffff, v4
	v_and_or_b32 v5, 0x8000, v7, v6
	v_lshl_or_b32 v4, v5, 16, v4
	global_store_dword v[0:1], v4, off
	global_load_dword v6, v[8:9], off offset:344
	ds_read2_b32 v[4:5], v42 offset0:86 offset1:101
	s_waitcnt lgkmcnt(0)
	v_lshrrev_b32_e32 v7, 16, v4
	s_waitcnt vmcnt(0)
	v_mul_f16_sdwa v10, v7, v6 dst_sel:DWORD dst_unused:UNUSED_PAD src0_sel:DWORD src1_sel:WORD_1
	v_mul_f16_sdwa v11, v4, v6 dst_sel:DWORD dst_unused:UNUSED_PAD src0_sel:DWORD src1_sel:WORD_1
	v_fmac_f16_e32 v10, v4, v6
	v_fma_f16 v4, v6, v7, -v11
	v_cvt_f32_f16_e32 v6, v10
	v_cvt_f32_f16_e32 v4, v4
	v_cvt_f64_f32_e32 v[6:7], v6
	v_cvt_f64_f32_e32 v[10:11], v4
	v_mul_f64 v[6:7], v[6:7], s[4:5]
	v_mul_f64 v[10:11], v[10:11], s[4:5]
	v_and_or_b32 v4, 0x1ff, v7, v6
	v_and_or_b32 v10, 0x1ff, v11, v10
	v_lshrrev_b32_e32 v6, 8, v7
	v_bfe_u32 v12, v7, 20, 11
	v_lshrrev_b32_e32 v13, 8, v11
	v_cmp_ne_u32_e32 vcc_lo, 0, v4
	v_bfe_u32 v14, v11, 20, 11
	v_lshrrev_b32_e32 v7, 16, v7
	v_sub_nc_u32_e32 v15, 0x3f1, v12
	v_add_nc_u32_e32 v12, 0xfffffc10, v12
	v_cndmask_b32_e64 v4, 0, 1, vcc_lo
	v_cmp_ne_u32_e32 vcc_lo, 0, v10
	v_lshrrev_b32_e32 v11, 16, v11
	v_and_or_b32 v4, 0xffe, v6, v4
	v_cndmask_b32_e64 v10, 0, 1, vcc_lo
	v_sub_nc_u32_e32 v6, 0x3f1, v14
	v_add_nc_u32_e32 v14, 0xfffffc10, v14
	v_and_or_b32 v10, 0xffe, v13, v10
	v_med3_i32 v13, v15, 0, 13
	v_or_b32_e32 v15, 0x1000, v4
	v_med3_i32 v6, v6, 0, 13
	v_or_b32_e32 v16, 0x1000, v10
	v_lshrrev_b32_e32 v17, v13, v15
	v_lshrrev_b32_e32 v18, v6, v16
	v_lshlrev_b32_e32 v13, v13, v17
	v_lshlrev_b32_e32 v6, v6, v18
	v_cmp_ne_u32_e32 vcc_lo, v13, v15
	v_lshl_or_b32 v15, v12, 12, v4
	v_cndmask_b32_e64 v13, 0, 1, vcc_lo
	v_cmp_ne_u32_e32 vcc_lo, v6, v16
	v_lshl_or_b32 v16, v14, 12, v10
	v_or_b32_e32 v13, v17, v13
	v_cndmask_b32_e64 v6, 0, 1, vcc_lo
	v_cmp_gt_i32_e32 vcc_lo, 1, v12
	v_or_b32_e32 v6, v18, v6
	v_cndmask_b32_e32 v13, v15, v13, vcc_lo
	v_cmp_gt_i32_e32 vcc_lo, 1, v14
	v_and_b32_e32 v15, 7, v13
	v_cndmask_b32_e32 v6, v16, v6, vcc_lo
	v_cmp_ne_u32_e32 vcc_lo, 0, v4
	v_lshrrev_b32_e32 v13, 2, v13
	v_cmp_eq_u32_e64 s0, 3, v15
	v_and_b32_e32 v16, 7, v6
	v_cndmask_b32_e64 v4, 0, 1, vcc_lo
	v_cmp_ne_u32_e32 vcc_lo, 0, v10
	v_lshrrev_b32_e32 v6, 2, v6
	v_cmp_lt_i32_e64 s1, 5, v16
	v_cmp_eq_u32_e64 s2, 3, v16
	v_cndmask_b32_e64 v10, 0, 1, vcc_lo
	v_cmp_lt_i32_e32 vcc_lo, 5, v15
	v_lshl_or_b32 v4, v4, 9, 0x7c00
	v_lshl_or_b32 v10, v10, 9, 0x7c00
	s_or_b32 vcc_lo, s0, vcc_lo
	v_add_co_ci_u32_e32 v13, vcc_lo, 0, v13, vcc_lo
	s_or_b32 vcc_lo, s2, s1
	v_add_co_ci_u32_e32 v6, vcc_lo, 0, v6, vcc_lo
	v_cmp_gt_i32_e32 vcc_lo, 31, v12
	v_cndmask_b32_e32 v13, 0x7c00, v13, vcc_lo
	v_cmp_gt_i32_e32 vcc_lo, 31, v14
	v_cndmask_b32_e32 v6, 0x7c00, v6, vcc_lo
	v_cmp_eq_u32_e32 vcc_lo, 0x40f, v12
	v_cndmask_b32_e32 v4, v13, v4, vcc_lo
	v_cmp_eq_u32_e32 vcc_lo, 0x40f, v14
	v_and_or_b32 v4, 0x8000, v7, v4
	v_cndmask_b32_e32 v6, v6, v10, vcc_lo
	v_add_co_u32 v0, vcc_lo, v0, s6
	v_add_co_ci_u32_e32 v1, vcc_lo, s7, v1, vcc_lo
	v_and_or_b32 v6, 0x8000, v11, v6
	v_and_b32_e32 v4, 0xffff, v4
	v_lshl_or_b32 v4, v6, 16, v4
	v_lshrrev_b32_e32 v6, 16, v5
	global_store_dword v[0:1], v4, off
	global_load_dword v4, v[8:9], off offset:404
	s_waitcnt vmcnt(0)
	v_mul_f16_sdwa v7, v6, v4 dst_sel:DWORD dst_unused:UNUSED_PAD src0_sel:DWORD src1_sel:WORD_1
	v_mul_f16_sdwa v10, v5, v4 dst_sel:DWORD dst_unused:UNUSED_PAD src0_sel:DWORD src1_sel:WORD_1
	v_fmac_f16_e32 v7, v5, v4
	v_fma_f16 v4, v4, v6, -v10
	v_cvt_f32_f16_e32 v5, v7
	v_cvt_f32_f16_e32 v6, v4
	v_cvt_f64_f32_e32 v[4:5], v5
	v_cvt_f64_f32_e32 v[6:7], v6
	v_mul_f64 v[4:5], v[4:5], s[4:5]
	v_mul_f64 v[6:7], v[6:7], s[4:5]
	v_and_or_b32 v4, 0x1ff, v5, v4
	v_and_or_b32 v6, 0x1ff, v7, v6
	v_lshrrev_b32_e32 v10, 8, v5
	v_bfe_u32 v11, v5, 20, 11
	v_lshrrev_b32_e32 v12, 8, v7
	v_cmp_ne_u32_e32 vcc_lo, 0, v4
	v_bfe_u32 v13, v7, 20, 11
	v_lshrrev_b32_e32 v5, 16, v5
	v_sub_nc_u32_e32 v14, 0x3f1, v11
	v_add_nc_u32_e32 v11, 0xfffffc10, v11
	v_cndmask_b32_e64 v4, 0, 1, vcc_lo
	v_cmp_ne_u32_e32 vcc_lo, 0, v6
	v_lshrrev_b32_e32 v7, 16, v7
	v_and_or_b32 v4, 0xffe, v10, v4
	v_cndmask_b32_e64 v6, 0, 1, vcc_lo
	v_sub_nc_u32_e32 v10, 0x3f1, v13
	v_add_nc_u32_e32 v13, 0xfffffc10, v13
	v_and_or_b32 v6, 0xffe, v12, v6
	v_med3_i32 v12, v14, 0, 13
	v_or_b32_e32 v14, 0x1000, v4
	v_med3_i32 v10, v10, 0, 13
	v_or_b32_e32 v15, 0x1000, v6
	v_lshrrev_b32_e32 v16, v12, v14
	v_lshrrev_b32_e32 v17, v10, v15
	v_lshlrev_b32_e32 v12, v12, v16
	v_lshlrev_b32_e32 v10, v10, v17
	v_cmp_ne_u32_e32 vcc_lo, v12, v14
	v_lshl_or_b32 v14, v11, 12, v4
	v_cndmask_b32_e64 v12, 0, 1, vcc_lo
	v_cmp_ne_u32_e32 vcc_lo, v10, v15
	v_lshl_or_b32 v15, v13, 12, v6
	v_or_b32_e32 v12, v16, v12
	v_cndmask_b32_e64 v10, 0, 1, vcc_lo
	v_cmp_gt_i32_e32 vcc_lo, 1, v11
	v_or_b32_e32 v10, v17, v10
	v_cndmask_b32_e32 v12, v14, v12, vcc_lo
	v_cmp_gt_i32_e32 vcc_lo, 1, v13
	v_and_b32_e32 v14, 7, v12
	v_cndmask_b32_e32 v10, v15, v10, vcc_lo
	v_cmp_ne_u32_e32 vcc_lo, 0, v4
	v_lshrrev_b32_e32 v12, 2, v12
	v_cmp_eq_u32_e64 s0, 3, v14
	v_and_b32_e32 v15, 7, v10
	v_cndmask_b32_e64 v4, 0, 1, vcc_lo
	v_cmp_ne_u32_e32 vcc_lo, 0, v6
	v_lshrrev_b32_e32 v10, 2, v10
	v_cmp_lt_i32_e64 s1, 5, v15
	v_cmp_eq_u32_e64 s2, 3, v15
	v_cndmask_b32_e64 v6, 0, 1, vcc_lo
	v_cmp_lt_i32_e32 vcc_lo, 5, v14
	v_lshl_or_b32 v4, v4, 9, 0x7c00
	v_lshl_or_b32 v6, v6, 9, 0x7c00
	s_or_b32 vcc_lo, s0, vcc_lo
	v_add_co_ci_u32_e32 v12, vcc_lo, 0, v12, vcc_lo
	s_or_b32 vcc_lo, s2, s1
	v_add_co_ci_u32_e32 v10, vcc_lo, 0, v10, vcc_lo
	v_cmp_gt_i32_e32 vcc_lo, 31, v11
	v_cndmask_b32_e32 v12, 0x7c00, v12, vcc_lo
	v_cmp_gt_i32_e32 vcc_lo, 31, v13
	v_cndmask_b32_e32 v10, 0x7c00, v10, vcc_lo
	v_cmp_eq_u32_e32 vcc_lo, 0x40f, v11
	v_cndmask_b32_e32 v4, v12, v4, vcc_lo
	v_cmp_eq_u32_e32 vcc_lo, 0x40f, v13
	v_and_or_b32 v4, 0x8000, v5, v4
	v_cndmask_b32_e32 v6, v10, v6, vcc_lo
	v_add_co_u32 v0, vcc_lo, v0, s6
	v_add_co_ci_u32_e32 v1, vcc_lo, s7, v1, vcc_lo
	v_and_or_b32 v5, 0x8000, v7, v6
	v_and_b32_e32 v4, 0xffff, v4
	v_lshl_or_b32 v4, v5, 16, v4
	global_store_dword v[0:1], v4, off
	global_load_dword v6, v[8:9], off offset:464
	ds_read2_b32 v[4:5], v42 offset0:116 offset1:131
	v_mad_u64_u32 v[0:1], null, 0x78, s8, v[0:1]
	v_add_nc_u32_e32 v1, s3, v1
	s_waitcnt lgkmcnt(0)
	v_lshrrev_b32_e32 v7, 16, v4
	s_waitcnt vmcnt(0)
	v_mul_f16_sdwa v10, v7, v6 dst_sel:DWORD dst_unused:UNUSED_PAD src0_sel:DWORD src1_sel:WORD_1
	v_mul_f16_sdwa v11, v4, v6 dst_sel:DWORD dst_unused:UNUSED_PAD src0_sel:DWORD src1_sel:WORD_1
	v_fmac_f16_e32 v10, v4, v6
	v_fma_f16 v4, v6, v7, -v11
	v_cvt_f32_f16_e32 v6, v10
	v_cvt_f32_f16_e32 v4, v4
	v_cvt_f64_f32_e32 v[6:7], v6
	v_cvt_f64_f32_e32 v[10:11], v4
	v_mul_f64 v[6:7], v[6:7], s[4:5]
	v_mul_f64 v[10:11], v[10:11], s[4:5]
	v_and_or_b32 v4, 0x1ff, v7, v6
	v_and_or_b32 v10, 0x1ff, v11, v10
	v_lshrrev_b32_e32 v6, 8, v7
	v_bfe_u32 v14, v7, 20, 11
	v_lshrrev_b32_e32 v12, 8, v11
	v_cmp_ne_u32_e32 vcc_lo, 0, v4
	v_bfe_u32 v15, v11, 20, 11
	v_lshrrev_b32_e32 v7, 16, v7
	v_sub_nc_u32_e32 v13, 0x3f1, v14
	v_lshrrev_b32_e32 v11, 16, v11
	v_cndmask_b32_e64 v4, 0, 1, vcc_lo
	v_cmp_ne_u32_e32 vcc_lo, 0, v10
	v_sub_nc_u32_e32 v16, 0x3f1, v15
	v_add_nc_u32_e32 v15, 0xfffffc10, v15
	v_and_or_b32 v6, 0xffe, v6, v4
	v_cndmask_b32_e64 v10, 0, 1, vcc_lo
	v_med3_i32 v4, v13, 0, 13
	v_med3_i32 v16, v16, 0, 13
	v_or_b32_e32 v17, 0x1000, v6
	v_and_or_b32 v10, 0xffe, v12, v10
	v_mad_u64_u32 v[12:13], null, s8, v43, 0
	v_lshrrev_b32_e32 v19, v4, v17
	v_or_b32_e32 v18, 0x1000, v10
	v_lshlrev_b32_e32 v21, v4, v19
	v_lshrrev_b32_e32 v20, v16, v18
	v_mov_b32_e32 v4, v13
	v_cmp_ne_u32_e32 vcc_lo, v21, v17
	v_lshlrev_b32_e32 v13, v16, v20
	v_add_nc_u32_e32 v16, 0xfffffc10, v14
	v_cndmask_b32_e64 v17, 0, 1, vcc_lo
	v_cmp_ne_u32_e32 vcc_lo, v13, v18
	v_mad_u64_u32 v[13:14], null, s9, v43, v[4:5]
	v_lshl_or_b32 v4, v16, 12, v6
	v_or_b32_e32 v14, v19, v17
	v_cndmask_b32_e64 v18, 0, 1, vcc_lo
	v_cmp_gt_i32_e32 vcc_lo, 1, v16
	v_lshl_or_b32 v17, v15, 12, v10
	v_or_b32_e32 v18, v20, v18
	v_cndmask_b32_e32 v4, v4, v14, vcc_lo
	v_cmp_gt_i32_e32 vcc_lo, 1, v15
	v_cndmask_b32_e32 v14, v17, v18, vcc_lo
	v_cmp_ne_u32_e32 vcc_lo, 0, v6
	v_and_b32_e32 v17, 7, v4
	v_lshrrev_b32_e32 v4, 2, v4
	v_and_b32_e32 v18, 7, v14
	v_cndmask_b32_e64 v6, 0, 1, vcc_lo
	v_cmp_ne_u32_e32 vcc_lo, 0, v10
	v_cmp_eq_u32_e64 s0, 3, v17
	v_lshrrev_b32_e32 v14, 2, v14
	v_cmp_lt_i32_e64 s1, 5, v18
	v_cmp_eq_u32_e64 s2, 3, v18
	v_cndmask_b32_e64 v10, 0, 1, vcc_lo
	v_cmp_lt_i32_e32 vcc_lo, 5, v17
	v_lshl_or_b32 v6, v6, 9, 0x7c00
	v_lshl_or_b32 v10, v10, 9, 0x7c00
	s_or_b32 vcc_lo, s0, vcc_lo
	v_add_co_ci_u32_e32 v4, vcc_lo, 0, v4, vcc_lo
	s_or_b32 vcc_lo, s2, s1
	v_add_co_ci_u32_e32 v14, vcc_lo, 0, v14, vcc_lo
	v_cmp_gt_i32_e32 vcc_lo, 31, v16
	v_cndmask_b32_e32 v4, 0x7c00, v4, vcc_lo
	v_cmp_gt_i32_e32 vcc_lo, 31, v15
	v_cndmask_b32_e32 v14, 0x7c00, v14, vcc_lo
	v_cmp_eq_u32_e32 vcc_lo, 0x40f, v16
	v_cndmask_b32_e32 v4, v4, v6, vcc_lo
	v_cmp_eq_u32_e32 vcc_lo, 0x40f, v15
	v_and_or_b32 v4, 0x8000, v7, v4
	v_cndmask_b32_e32 v10, v14, v10, vcc_lo
	v_lshlrev_b64 v[6:7], 2, v[12:13]
	v_and_b32_e32 v4, 0xffff, v4
	v_and_or_b32 v10, 0x8000, v11, v10
	v_add_co_u32 v2, vcc_lo, v2, v6
	v_add_co_ci_u32_e32 v3, vcc_lo, v3, v7, vcc_lo
	v_lshl_or_b32 v4, v10, 16, v4
	global_store_dword v[2:3], v4, off
	global_load_dword v2, v[8:9], off offset:524
	v_lshrrev_b32_e32 v3, 16, v5
	s_waitcnt vmcnt(0)
	v_mul_f16_sdwa v4, v3, v2 dst_sel:DWORD dst_unused:UNUSED_PAD src0_sel:DWORD src1_sel:WORD_1
	v_mul_f16_sdwa v6, v5, v2 dst_sel:DWORD dst_unused:UNUSED_PAD src0_sel:DWORD src1_sel:WORD_1
	v_fmac_f16_e32 v4, v5, v2
	v_fma_f16 v2, v2, v3, -v6
	v_cvt_f32_f16_e32 v3, v4
	v_cvt_f32_f16_e32 v4, v2
	v_cvt_f64_f32_e32 v[2:3], v3
	v_cvt_f64_f32_e32 v[4:5], v4
	v_mul_f64 v[2:3], v[2:3], s[4:5]
	v_mul_f64 v[4:5], v[4:5], s[4:5]
	v_and_or_b32 v2, 0x1ff, v3, v2
	v_and_or_b32 v4, 0x1ff, v5, v4
	v_lshrrev_b32_e32 v6, 8, v3
	v_bfe_u32 v7, v3, 20, 11
	v_lshrrev_b32_e32 v10, 8, v5
	v_cmp_ne_u32_e32 vcc_lo, 0, v2
	v_bfe_u32 v11, v5, 20, 11
	v_lshrrev_b32_e32 v3, 16, v3
	v_sub_nc_u32_e32 v12, 0x3f1, v7
	v_add_nc_u32_e32 v7, 0xfffffc10, v7
	v_cndmask_b32_e64 v2, 0, 1, vcc_lo
	v_cmp_ne_u32_e32 vcc_lo, 0, v4
	v_lshrrev_b32_e32 v5, 16, v5
	v_and_or_b32 v2, 0xffe, v6, v2
	v_cndmask_b32_e64 v4, 0, 1, vcc_lo
	v_sub_nc_u32_e32 v6, 0x3f1, v11
	v_add_nc_u32_e32 v11, 0xfffffc10, v11
	v_and_or_b32 v4, 0xffe, v10, v4
	v_med3_i32 v10, v12, 0, 13
	v_or_b32_e32 v12, 0x1000, v2
	v_med3_i32 v6, v6, 0, 13
	v_or_b32_e32 v13, 0x1000, v4
	v_lshrrev_b32_e32 v14, v10, v12
	v_lshrrev_b32_e32 v15, v6, v13
	v_lshlrev_b32_e32 v10, v10, v14
	v_lshlrev_b32_e32 v6, v6, v15
	v_cmp_ne_u32_e32 vcc_lo, v10, v12
	v_lshl_or_b32 v12, v7, 12, v2
	v_cndmask_b32_e64 v10, 0, 1, vcc_lo
	v_cmp_ne_u32_e32 vcc_lo, v6, v13
	v_lshl_or_b32 v13, v11, 12, v4
	v_or_b32_e32 v10, v14, v10
	v_cndmask_b32_e64 v6, 0, 1, vcc_lo
	v_cmp_gt_i32_e32 vcc_lo, 1, v7
	v_or_b32_e32 v6, v15, v6
	v_cndmask_b32_e32 v10, v12, v10, vcc_lo
	v_cmp_gt_i32_e32 vcc_lo, 1, v11
	v_and_b32_e32 v12, 7, v10
	v_cndmask_b32_e32 v6, v13, v6, vcc_lo
	v_cmp_ne_u32_e32 vcc_lo, 0, v2
	v_lshrrev_b32_e32 v10, 2, v10
	v_cmp_eq_u32_e64 s0, 3, v12
	v_and_b32_e32 v13, 7, v6
	v_cndmask_b32_e64 v2, 0, 1, vcc_lo
	v_cmp_ne_u32_e32 vcc_lo, 0, v4
	v_lshrrev_b32_e32 v6, 2, v6
	v_cmp_lt_i32_e64 s1, 5, v13
	v_cmp_eq_u32_e64 s2, 3, v13
	v_cndmask_b32_e64 v4, 0, 1, vcc_lo
	v_cmp_lt_i32_e32 vcc_lo, 5, v12
	v_lshl_or_b32 v2, v2, 9, 0x7c00
	v_lshl_or_b32 v4, v4, 9, 0x7c00
	s_or_b32 vcc_lo, s0, vcc_lo
	v_add_co_ci_u32_e32 v10, vcc_lo, 0, v10, vcc_lo
	s_or_b32 vcc_lo, s2, s1
	v_add_co_ci_u32_e32 v6, vcc_lo, 0, v6, vcc_lo
	v_cmp_gt_i32_e32 vcc_lo, 31, v7
	v_cndmask_b32_e32 v10, 0x7c00, v10, vcc_lo
	v_cmp_gt_i32_e32 vcc_lo, 31, v11
	v_cndmask_b32_e32 v6, 0x7c00, v6, vcc_lo
	v_cmp_eq_u32_e32 vcc_lo, 0x40f, v7
	v_cndmask_b32_e32 v2, v10, v2, vcc_lo
	v_cmp_eq_u32_e32 vcc_lo, 0x40f, v11
	v_and_or_b32 v2, 0x8000, v3, v2
	v_cndmask_b32_e32 v4, v6, v4, vcc_lo
	v_and_b32_e32 v2, 0xffff, v2
	v_and_or_b32 v3, 0x8000, v5, v4
	v_lshl_or_b32 v2, v3, 16, v2
	global_store_dword v[0:1], v2, off
	global_load_dword v4, v[8:9], off offset:584
	ds_read2_b32 v[2:3], v42 offset0:146 offset1:161
	s_waitcnt lgkmcnt(0)
	v_lshrrev_b32_e32 v5, 16, v2
	s_waitcnt vmcnt(0)
	v_mul_f16_sdwa v6, v5, v4 dst_sel:DWORD dst_unused:UNUSED_PAD src0_sel:DWORD src1_sel:WORD_1
	v_mul_f16_sdwa v7, v2, v4 dst_sel:DWORD dst_unused:UNUSED_PAD src0_sel:DWORD src1_sel:WORD_1
	v_fmac_f16_e32 v6, v2, v4
	v_fma_f16 v2, v4, v5, -v7
	v_cvt_f32_f16_e32 v4, v6
	v_cvt_f32_f16_e32 v2, v2
	v_cvt_f64_f32_e32 v[4:5], v4
	v_cvt_f64_f32_e32 v[6:7], v2
	v_mul_f64 v[4:5], v[4:5], s[4:5]
	v_mul_f64 v[6:7], v[6:7], s[4:5]
	v_and_or_b32 v2, 0x1ff, v5, v4
	v_and_or_b32 v6, 0x1ff, v7, v6
	v_lshrrev_b32_e32 v4, 8, v5
	v_bfe_u32 v10, v5, 20, 11
	v_lshrrev_b32_e32 v11, 8, v7
	v_cmp_ne_u32_e32 vcc_lo, 0, v2
	v_bfe_u32 v12, v7, 20, 11
	v_lshrrev_b32_e32 v5, 16, v5
	v_sub_nc_u32_e32 v13, 0x3f1, v10
	v_add_nc_u32_e32 v10, 0xfffffc10, v10
	v_cndmask_b32_e64 v2, 0, 1, vcc_lo
	v_cmp_ne_u32_e32 vcc_lo, 0, v6
	v_lshrrev_b32_e32 v7, 16, v7
	v_and_or_b32 v2, 0xffe, v4, v2
	v_cndmask_b32_e64 v6, 0, 1, vcc_lo
	v_sub_nc_u32_e32 v4, 0x3f1, v12
	v_add_nc_u32_e32 v12, 0xfffffc10, v12
	v_and_or_b32 v6, 0xffe, v11, v6
	v_med3_i32 v11, v13, 0, 13
	v_or_b32_e32 v13, 0x1000, v2
	v_med3_i32 v4, v4, 0, 13
	v_or_b32_e32 v14, 0x1000, v6
	v_lshrrev_b32_e32 v15, v11, v13
	v_lshrrev_b32_e32 v16, v4, v14
	v_lshlrev_b32_e32 v11, v11, v15
	v_lshlrev_b32_e32 v4, v4, v16
	v_cmp_ne_u32_e32 vcc_lo, v11, v13
	v_lshl_or_b32 v13, v10, 12, v2
	v_cndmask_b32_e64 v11, 0, 1, vcc_lo
	v_cmp_ne_u32_e32 vcc_lo, v4, v14
	v_lshl_or_b32 v14, v12, 12, v6
	v_or_b32_e32 v11, v15, v11
	v_cndmask_b32_e64 v4, 0, 1, vcc_lo
	v_cmp_gt_i32_e32 vcc_lo, 1, v10
	v_or_b32_e32 v4, v16, v4
	v_cndmask_b32_e32 v11, v13, v11, vcc_lo
	v_cmp_gt_i32_e32 vcc_lo, 1, v12
	v_and_b32_e32 v13, 7, v11
	v_cndmask_b32_e32 v4, v14, v4, vcc_lo
	v_cmp_ne_u32_e32 vcc_lo, 0, v2
	v_lshrrev_b32_e32 v11, 2, v11
	v_cmp_eq_u32_e64 s0, 3, v13
	v_and_b32_e32 v14, 7, v4
	v_cndmask_b32_e64 v2, 0, 1, vcc_lo
	v_cmp_ne_u32_e32 vcc_lo, 0, v6
	v_lshrrev_b32_e32 v4, 2, v4
	v_cmp_lt_i32_e64 s1, 5, v14
	v_cmp_eq_u32_e64 s2, 3, v14
	v_cndmask_b32_e64 v6, 0, 1, vcc_lo
	v_cmp_lt_i32_e32 vcc_lo, 5, v13
	v_lshl_or_b32 v2, v2, 9, 0x7c00
	v_lshl_or_b32 v6, v6, 9, 0x7c00
	s_or_b32 vcc_lo, s0, vcc_lo
	v_add_co_ci_u32_e32 v11, vcc_lo, 0, v11, vcc_lo
	s_or_b32 vcc_lo, s2, s1
	v_add_co_ci_u32_e32 v4, vcc_lo, 0, v4, vcc_lo
	v_cmp_gt_i32_e32 vcc_lo, 31, v10
	v_cndmask_b32_e32 v11, 0x7c00, v11, vcc_lo
	v_cmp_gt_i32_e32 vcc_lo, 31, v12
	v_cndmask_b32_e32 v4, 0x7c00, v4, vcc_lo
	v_cmp_eq_u32_e32 vcc_lo, 0x40f, v10
	v_cndmask_b32_e32 v2, v11, v2, vcc_lo
	v_cmp_eq_u32_e32 vcc_lo, 0x40f, v12
	v_and_or_b32 v2, 0x8000, v5, v2
	v_cndmask_b32_e32 v4, v4, v6, vcc_lo
	v_add_co_u32 v0, vcc_lo, v0, s6
	v_add_co_ci_u32_e32 v1, vcc_lo, s7, v1, vcc_lo
	v_and_or_b32 v4, 0x8000, v7, v4
	v_and_b32_e32 v2, 0xffff, v2
	v_lshl_or_b32 v2, v4, 16, v2
	v_lshrrev_b32_e32 v4, 16, v3
	global_store_dword v[0:1], v2, off
	global_load_dword v2, v[8:9], off offset:644
	s_waitcnt vmcnt(0)
	v_mul_f16_sdwa v5, v4, v2 dst_sel:DWORD dst_unused:UNUSED_PAD src0_sel:DWORD src1_sel:WORD_1
	v_mul_f16_sdwa v6, v3, v2 dst_sel:DWORD dst_unused:UNUSED_PAD src0_sel:DWORD src1_sel:WORD_1
	v_fmac_f16_e32 v5, v3, v2
	v_fma_f16 v2, v2, v4, -v6
	v_cvt_f32_f16_e32 v3, v5
	v_cvt_f32_f16_e32 v4, v2
	v_cvt_f64_f32_e32 v[2:3], v3
	v_cvt_f64_f32_e32 v[4:5], v4
	v_mul_f64 v[2:3], v[2:3], s[4:5]
	v_mul_f64 v[4:5], v[4:5], s[4:5]
	v_and_or_b32 v2, 0x1ff, v3, v2
	v_and_or_b32 v4, 0x1ff, v5, v4
	v_lshrrev_b32_e32 v6, 8, v3
	v_bfe_u32 v7, v3, 20, 11
	v_lshrrev_b32_e32 v8, 8, v5
	v_cmp_ne_u32_e32 vcc_lo, 0, v2
	v_bfe_u32 v9, v5, 20, 11
	v_lshrrev_b32_e32 v3, 16, v3
	v_sub_nc_u32_e32 v10, 0x3f1, v7
	v_add_nc_u32_e32 v7, 0xfffffc10, v7
	v_cndmask_b32_e64 v2, 0, 1, vcc_lo
	v_cmp_ne_u32_e32 vcc_lo, 0, v4
	v_lshrrev_b32_e32 v5, 16, v5
	v_and_or_b32 v2, 0xffe, v6, v2
	v_cndmask_b32_e64 v4, 0, 1, vcc_lo
	v_sub_nc_u32_e32 v6, 0x3f1, v9
	v_add_nc_u32_e32 v9, 0xfffffc10, v9
	v_and_or_b32 v4, 0xffe, v8, v4
	v_med3_i32 v8, v10, 0, 13
	v_or_b32_e32 v10, 0x1000, v2
	v_med3_i32 v6, v6, 0, 13
	v_or_b32_e32 v11, 0x1000, v4
	v_lshrrev_b32_e32 v12, v8, v10
	v_lshrrev_b32_e32 v13, v6, v11
	v_lshlrev_b32_e32 v8, v8, v12
	v_lshlrev_b32_e32 v6, v6, v13
	v_cmp_ne_u32_e32 vcc_lo, v8, v10
	v_lshl_or_b32 v10, v7, 12, v2
	v_cndmask_b32_e64 v8, 0, 1, vcc_lo
	v_cmp_ne_u32_e32 vcc_lo, v6, v11
	v_lshl_or_b32 v11, v9, 12, v4
	v_or_b32_e32 v8, v12, v8
	v_cndmask_b32_e64 v6, 0, 1, vcc_lo
	v_cmp_gt_i32_e32 vcc_lo, 1, v7
	v_or_b32_e32 v6, v13, v6
	v_cndmask_b32_e32 v8, v10, v8, vcc_lo
	v_cmp_gt_i32_e32 vcc_lo, 1, v9
	v_and_b32_e32 v10, 7, v8
	v_cndmask_b32_e32 v6, v11, v6, vcc_lo
	v_cmp_ne_u32_e32 vcc_lo, 0, v2
	v_lshrrev_b32_e32 v8, 2, v8
	v_cmp_eq_u32_e64 s0, 3, v10
	v_and_b32_e32 v11, 7, v6
	v_cndmask_b32_e64 v2, 0, 1, vcc_lo
	v_cmp_ne_u32_e32 vcc_lo, 0, v4
	v_lshrrev_b32_e32 v6, 2, v6
	v_cmp_lt_i32_e64 s1, 5, v11
	v_cmp_eq_u32_e64 s2, 3, v11
	v_cndmask_b32_e64 v4, 0, 1, vcc_lo
	v_cmp_lt_i32_e32 vcc_lo, 5, v10
	v_lshl_or_b32 v2, v2, 9, 0x7c00
	v_lshl_or_b32 v4, v4, 9, 0x7c00
	s_or_b32 vcc_lo, s0, vcc_lo
	v_add_co_ci_u32_e32 v8, vcc_lo, 0, v8, vcc_lo
	s_or_b32 vcc_lo, s2, s1
	v_add_co_ci_u32_e32 v6, vcc_lo, 0, v6, vcc_lo
	v_cmp_gt_i32_e32 vcc_lo, 31, v7
	v_cndmask_b32_e32 v8, 0x7c00, v8, vcc_lo
	v_cmp_gt_i32_e32 vcc_lo, 31, v9
	v_cndmask_b32_e32 v6, 0x7c00, v6, vcc_lo
	v_cmp_eq_u32_e32 vcc_lo, 0x40f, v7
	v_cndmask_b32_e32 v2, v8, v2, vcc_lo
	v_cmp_eq_u32_e32 vcc_lo, 0x40f, v9
	v_and_or_b32 v2, 0x8000, v3, v2
	v_cndmask_b32_e32 v4, v6, v4, vcc_lo
	v_add_co_u32 v0, vcc_lo, v0, s6
	v_add_co_ci_u32_e32 v1, vcc_lo, s7, v1, vcc_lo
	v_and_or_b32 v3, 0x8000, v5, v4
	v_and_b32_e32 v2, 0xffff, v2
	v_lshl_or_b32 v2, v3, 16, v2
	global_store_dword v[0:1], v2, off
.LBB0_15:
	s_endpgm
	.section	.rodata,"a",@progbits
	.p2align	6, 0x0
	.amdhsa_kernel bluestein_single_fwd_len165_dim1_half_op_CI_CI
		.amdhsa_group_segment_fixed_size 3300
		.amdhsa_private_segment_fixed_size 0
		.amdhsa_kernarg_size 104
		.amdhsa_user_sgpr_count 6
		.amdhsa_user_sgpr_private_segment_buffer 1
		.amdhsa_user_sgpr_dispatch_ptr 0
		.amdhsa_user_sgpr_queue_ptr 0
		.amdhsa_user_sgpr_kernarg_segment_ptr 1
		.amdhsa_user_sgpr_dispatch_id 0
		.amdhsa_user_sgpr_flat_scratch_init 0
		.amdhsa_user_sgpr_private_segment_size 0
		.amdhsa_wavefront_size32 1
		.amdhsa_uses_dynamic_stack 0
		.amdhsa_system_sgpr_private_segment_wavefront_offset 0
		.amdhsa_system_sgpr_workgroup_id_x 1
		.amdhsa_system_sgpr_workgroup_id_y 0
		.amdhsa_system_sgpr_workgroup_id_z 0
		.amdhsa_system_sgpr_workgroup_info 0
		.amdhsa_system_vgpr_workitem_id 0
		.amdhsa_next_free_vgpr 137
		.amdhsa_next_free_sgpr 18
		.amdhsa_reserve_vcc 1
		.amdhsa_reserve_flat_scratch 0
		.amdhsa_float_round_mode_32 0
		.amdhsa_float_round_mode_16_64 0
		.amdhsa_float_denorm_mode_32 3
		.amdhsa_float_denorm_mode_16_64 3
		.amdhsa_dx10_clamp 1
		.amdhsa_ieee_mode 1
		.amdhsa_fp16_overflow 0
		.amdhsa_workgroup_processor_mode 1
		.amdhsa_memory_ordered 1
		.amdhsa_forward_progress 0
		.amdhsa_shared_vgpr_count 0
		.amdhsa_exception_fp_ieee_invalid_op 0
		.amdhsa_exception_fp_denorm_src 0
		.amdhsa_exception_fp_ieee_div_zero 0
		.amdhsa_exception_fp_ieee_overflow 0
		.amdhsa_exception_fp_ieee_underflow 0
		.amdhsa_exception_fp_ieee_inexact 0
		.amdhsa_exception_int_div_zero 0
	.end_amdhsa_kernel
	.text
.Lfunc_end0:
	.size	bluestein_single_fwd_len165_dim1_half_op_CI_CI, .Lfunc_end0-bluestein_single_fwd_len165_dim1_half_op_CI_CI
                                        ; -- End function
	.section	.AMDGPU.csdata,"",@progbits
; Kernel info:
; codeLenInByte = 31712
; NumSgprs: 20
; NumVgprs: 137
; ScratchSize: 0
; MemoryBound: 0
; FloatMode: 240
; IeeeMode: 1
; LDSByteSize: 3300 bytes/workgroup (compile time only)
; SGPRBlocks: 2
; VGPRBlocks: 17
; NumSGPRsForWavesPerEU: 20
; NumVGPRsForWavesPerEU: 137
; Occupancy: 7
; WaveLimiterHint : 1
; COMPUTE_PGM_RSRC2:SCRATCH_EN: 0
; COMPUTE_PGM_RSRC2:USER_SGPR: 6
; COMPUTE_PGM_RSRC2:TRAP_HANDLER: 0
; COMPUTE_PGM_RSRC2:TGID_X_EN: 1
; COMPUTE_PGM_RSRC2:TGID_Y_EN: 0
; COMPUTE_PGM_RSRC2:TGID_Z_EN: 0
; COMPUTE_PGM_RSRC2:TIDIG_COMP_CNT: 0
	.text
	.p2alignl 6, 3214868480
	.fill 48, 4, 3214868480
	.type	__hip_cuid_dfa2bb1d4cf4576a,@object ; @__hip_cuid_dfa2bb1d4cf4576a
	.section	.bss,"aw",@nobits
	.globl	__hip_cuid_dfa2bb1d4cf4576a
__hip_cuid_dfa2bb1d4cf4576a:
	.byte	0                               ; 0x0
	.size	__hip_cuid_dfa2bb1d4cf4576a, 1

	.ident	"AMD clang version 19.0.0git (https://github.com/RadeonOpenCompute/llvm-project roc-6.4.0 25133 c7fe45cf4b819c5991fe208aaa96edf142730f1d)"
	.section	".note.GNU-stack","",@progbits
	.addrsig
	.addrsig_sym __hip_cuid_dfa2bb1d4cf4576a
	.amdgpu_metadata
---
amdhsa.kernels:
  - .args:
      - .actual_access:  read_only
        .address_space:  global
        .offset:         0
        .size:           8
        .value_kind:     global_buffer
      - .actual_access:  read_only
        .address_space:  global
        .offset:         8
        .size:           8
        .value_kind:     global_buffer
      - .actual_access:  read_only
        .address_space:  global
        .offset:         16
        .size:           8
        .value_kind:     global_buffer
      - .actual_access:  read_only
        .address_space:  global
        .offset:         24
        .size:           8
        .value_kind:     global_buffer
      - .actual_access:  read_only
        .address_space:  global
        .offset:         32
        .size:           8
        .value_kind:     global_buffer
      - .offset:         40
        .size:           8
        .value_kind:     by_value
      - .address_space:  global
        .offset:         48
        .size:           8
        .value_kind:     global_buffer
      - .address_space:  global
        .offset:         56
        .size:           8
        .value_kind:     global_buffer
      - .address_space:  global
        .offset:         64
        .size:           8
        .value_kind:     global_buffer
      - .address_space:  global
        .offset:         72
        .size:           8
        .value_kind:     global_buffer
      - .offset:         80
        .size:           4
        .value_kind:     by_value
      - .address_space:  global
        .offset:         88
        .size:           8
        .value_kind:     global_buffer
      - .address_space:  global
        .offset:         96
        .size:           8
        .value_kind:     global_buffer
    .group_segment_fixed_size: 3300
    .kernarg_segment_align: 8
    .kernarg_segment_size: 104
    .language:       OpenCL C
    .language_version:
      - 2
      - 0
    .max_flat_workgroup_size: 55
    .name:           bluestein_single_fwd_len165_dim1_half_op_CI_CI
    .private_segment_fixed_size: 0
    .sgpr_count:     20
    .sgpr_spill_count: 0
    .symbol:         bluestein_single_fwd_len165_dim1_half_op_CI_CI.kd
    .uniform_work_group_size: 1
    .uses_dynamic_stack: false
    .vgpr_count:     137
    .vgpr_spill_count: 0
    .wavefront_size: 32
    .workgroup_processor_mode: 1
amdhsa.target:   amdgcn-amd-amdhsa--gfx1030
amdhsa.version:
  - 1
  - 2
...

	.end_amdgpu_metadata
